;; amdgpu-corpus repo=ROCm/rocFFT kind=compiled arch=gfx906 opt=O3
	.text
	.amdgcn_target "amdgcn-amd-amdhsa--gfx906"
	.amdhsa_code_object_version 6
	.protected	bluestein_single_back_len400_dim1_half_op_CI_CI ; -- Begin function bluestein_single_back_len400_dim1_half_op_CI_CI
	.globl	bluestein_single_back_len400_dim1_half_op_CI_CI
	.p2align	8
	.type	bluestein_single_back_len400_dim1_half_op_CI_CI,@function
bluestein_single_back_len400_dim1_half_op_CI_CI: ; @bluestein_single_back_len400_dim1_half_op_CI_CI
; %bb.0:
	v_mul_u32_u24_e32 v1, 0x667, v0
	s_load_dwordx4 s[12:15], s[4:5], 0x28
	v_lshrrev_b32_e32 v1, 16, v1
	v_mad_u64_u32 v[21:22], s[0:1], s6, 3, v[1:2]
	v_mov_b32_e32 v22, 0
	s_waitcnt lgkmcnt(0)
	v_cmp_gt_u64_e32 vcc, s[12:13], v[21:22]
	s_and_saveexec_b64 s[0:1], vcc
	s_cbranch_execz .LBB0_15
; %bb.1:
	s_load_dwordx4 s[0:3], s[4:5], 0x18
	s_load_dwordx2 s[12:13], s[4:5], 0x0
	v_mul_lo_u16_e32 v1, 40, v1
	v_sub_u16_e32 v39, v0, v1
	v_lshlrev_b32_e32 v24, 2, v39
	s_waitcnt lgkmcnt(0)
	s_load_dwordx4 s[8:11], s[0:1], 0x0
	global_load_dword v41, v24, s[12:13]
	v_mov_b32_e32 v11, s13
	s_waitcnt lgkmcnt(0)
	v_mad_u64_u32 v[0:1], s[0:1], s10, v21, 0
	v_mad_u64_u32 v[2:3], s[0:1], s8, v39, 0
	;; [unrolled: 1-line block ×4, first 2 shown]
	v_mov_b32_e32 v1, v4
	v_lshlrev_b64 v[0:1], 2, v[0:1]
	v_mov_b32_e32 v6, s15
	v_mov_b32_e32 v3, v5
	v_add_co_u32_e32 v4, vcc, s14, v0
	v_addc_co_u32_e32 v5, vcc, v6, v1, vcc
	v_lshlrev_b64 v[0:1], 2, v[2:3]
	s_mul_i32 s0, s9, 0x64
	v_add_co_u32_e32 v0, vcc, v4, v0
	s_mul_hi_u32 s1, s8, 0x64
	v_addc_co_u32_e32 v1, vcc, v5, v1, vcc
	s_add_i32 s1, s1, s0
	s_mul_i32 s0, s8, 0x64
	global_load_dword v4, v[0:1], off
	s_lshl_b64 s[14:15], s[0:1], 2
	v_mov_b32_e32 v5, s15
	v_add_co_u32_e32 v0, vcc, s14, v0
	v_addc_co_u32_e32 v1, vcc, v1, v5, vcc
	global_load_dword v6, v[0:1], off
	global_load_dword v40, v24, s[12:13] offset:400
	v_add_co_u32_e32 v0, vcc, s14, v0
	v_addc_co_u32_e32 v1, vcc, v1, v5, vcc
	global_load_dword v38, v24, s[12:13] offset:800
	v_add_co_u32_e32 v2, vcc, s14, v0
	v_addc_co_u32_e32 v3, vcc, v1, v5, vcc
	global_load_dword v7, v[0:1], off
	global_load_dword v8, v[2:3], off
	global_load_dword v37, v24, s[12:13] offset:1200
	s_mul_hi_u32 s1, s8, 0xfffffefc
	s_mul_i32 s0, s9, 0xfffffefc
	s_sub_i32 s1, s1, s8
	s_add_i32 s1, s1, s0
	s_mul_i32 s0, s8, 0xfffffefc
	s_lshl_b64 s[16:17], s[0:1], 2
	v_mov_b32_e32 v1, s17
	v_add_co_u32_e32 v0, vcc, s16, v2
	v_addc_co_u32_e32 v1, vcc, v3, v1, vcc
	global_load_dword v2, v[0:1], off
	global_load_dword v33, v24, s[12:13] offset:1360
	global_load_dword v34, v24, s[12:13] offset:960
	;; [unrolled: 1-line block ×4, first 2 shown]
	v_add_co_u32_e32 v0, vcc, s14, v0
	v_addc_co_u32_e32 v1, vcc, v1, v5, vcc
	global_load_dword v3, v[0:1], off
	v_add_co_u32_e32 v0, vcc, s14, v0
	v_addc_co_u32_e32 v1, vcc, v1, v5, vcc
	global_load_dword v9, v[0:1], off
	;; [unrolled: 3-line block ×3, first 2 shown]
	s_mov_b32 s0, 0xaaaaaaab
	v_mul_hi_u32 v10, v21, s0
	v_add_co_u32_e32 v19, vcc, s12, v24
	v_addc_co_u32_e32 v20, vcc, 0, v11, vcc
	v_lshrrev_b32_e32 v10, 1, v10
	v_lshl_add_u32 v10, v10, 1, v10
	v_sub_u32_e32 v10, v21, v10
	v_mul_u32_u24_e32 v10, 0x190, v10
	v_lshlrev_b32_e32 v42, 2, v10
	v_add_u32_e32 v32, v24, v42
	s_load_dwordx2 s[6:7], s[4:5], 0x38
	s_load_dwordx4 s[8:11], s[2:3], 0x0
	v_cmp_gt_u16_e64 s[0:1], 20, v39
	s_waitcnt vmcnt(14)
	v_lshrrev_b32_e32 v10, 16, v4
	v_mul_f16_sdwa v11, v41, v4 dst_sel:DWORD dst_unused:UNUSED_PAD src0_sel:WORD_1 src1_sel:DWORD
	v_mul_f16_sdwa v12, v41, v10 dst_sel:DWORD dst_unused:UNUSED_PAD src0_sel:WORD_1 src1_sel:DWORD
	v_fma_f16 v10, v41, v10, -v11
	v_fma_f16 v4, v41, v4, v12
	v_pack_b32_f16 v4, v4, v10
	s_waitcnt vmcnt(13)
	v_lshrrev_b32_e32 v11, 16, v6
	s_waitcnt vmcnt(12)
	v_mul_f16_sdwa v10, v40, v11 dst_sel:DWORD dst_unused:UNUSED_PAD src0_sel:WORD_1 src1_sel:DWORD
	v_fma_f16 v10, v40, v6, v10
	v_mul_f16_sdwa v6, v40, v6 dst_sel:DWORD dst_unused:UNUSED_PAD src0_sel:WORD_1 src1_sel:DWORD
	v_fma_f16 v6, v40, v11, -v6
	v_pack_b32_f16 v6, v10, v6
	ds_write_b32 v32, v6 offset:400
	s_waitcnt vmcnt(10)
	v_lshrrev_b32_e32 v6, 16, v7
	v_mul_f16_sdwa v10, v38, v6 dst_sel:DWORD dst_unused:UNUSED_PAD src0_sel:WORD_1 src1_sel:DWORD
	v_fma_f16 v10, v38, v7, v10
	v_mul_f16_sdwa v7, v38, v7 dst_sel:DWORD dst_unused:UNUSED_PAD src0_sel:WORD_1 src1_sel:DWORD
	v_fma_f16 v6, v38, v6, -v7
	v_pack_b32_f16 v6, v10, v6
	ds_write_b32 v32, v6 offset:800
	s_waitcnt vmcnt(9)
	v_lshrrev_b32_e32 v6, 16, v8
	s_waitcnt vmcnt(8)
	v_mul_f16_sdwa v7, v37, v6 dst_sel:DWORD dst_unused:UNUSED_PAD src0_sel:WORD_1 src1_sel:DWORD
	v_fma_f16 v7, v37, v8, v7
	v_mul_f16_sdwa v8, v37, v8 dst_sel:DWORD dst_unused:UNUSED_PAD src0_sel:WORD_1 src1_sel:DWORD
	v_fma_f16 v6, v37, v6, -v8
	v_pack_b32_f16 v6, v7, v6
	ds_write_b32 v32, v6 offset:1200
	s_waitcnt vmcnt(7)
	v_lshrrev_b32_e32 v6, 16, v2
	s_waitcnt vmcnt(3)
	v_mul_f16_sdwa v7, v36, v6 dst_sel:DWORD dst_unused:UNUSED_PAD src0_sel:WORD_1 src1_sel:DWORD
	v_fma_f16 v7, v36, v2, v7
	v_mul_f16_sdwa v2, v36, v2 dst_sel:DWORD dst_unused:UNUSED_PAD src0_sel:WORD_1 src1_sel:DWORD
	v_fma_f16 v2, v36, v6, -v2
	v_pack_b32_f16 v2, v7, v2
	ds_write2_b32 v32, v4, v2 offset1:40
	s_waitcnt vmcnt(2)
	v_lshrrev_b32_e32 v2, 16, v3
	v_mul_f16_sdwa v4, v35, v2 dst_sel:DWORD dst_unused:UNUSED_PAD src0_sel:WORD_1 src1_sel:DWORD
	v_fma_f16 v4, v35, v3, v4
	v_mul_f16_sdwa v3, v35, v3 dst_sel:DWORD dst_unused:UNUSED_PAD src0_sel:WORD_1 src1_sel:DWORD
	v_fma_f16 v2, v35, v2, -v3
	v_pack_b32_f16 v2, v4, v2
	ds_write_b32 v32, v2 offset:560
	s_waitcnt vmcnt(1)
	v_lshrrev_b32_e32 v2, 16, v9
	v_mul_f16_sdwa v3, v34, v2 dst_sel:DWORD dst_unused:UNUSED_PAD src0_sel:WORD_1 src1_sel:DWORD
	v_mul_f16_sdwa v4, v34, v9 dst_sel:DWORD dst_unused:UNUSED_PAD src0_sel:WORD_1 src1_sel:DWORD
	v_fma_f16 v3, v34, v9, v3
	v_fma_f16 v2, v34, v2, -v4
	v_pack_b32_f16 v2, v3, v2
	ds_write_b32 v32, v2 offset:960
	s_waitcnt vmcnt(0)
	v_lshrrev_b32_e32 v2, 16, v5
	v_mul_f16_sdwa v3, v33, v2 dst_sel:DWORD dst_unused:UNUSED_PAD src0_sel:WORD_1 src1_sel:DWORD
	v_mul_f16_sdwa v4, v33, v5 dst_sel:DWORD dst_unused:UNUSED_PAD src0_sel:WORD_1 src1_sel:DWORD
	v_fma_f16 v3, v33, v5, v3
	v_fma_f16 v2, v33, v2, -v4
	v_pack_b32_f16 v2, v3, v2
	ds_write_b32 v32, v2 offset:1360
	s_and_saveexec_b64 s[2:3], s[0:1]
	s_cbranch_execz .LBB0_3
; %bb.2:
	v_mov_b32_e32 v2, s17
	v_add_co_u32_e32 v0, vcc, s16, v0
	v_addc_co_u32_e32 v1, vcc, v1, v2, vcc
	global_load_dword v2, v[0:1], off
	global_load_dword v3, v[19:20], off offset:320
	v_mov_b32_e32 v4, s15
	v_add_co_u32_e32 v0, vcc, s14, v0
	v_addc_co_u32_e32 v1, vcc, v1, v4, vcc
	global_load_dword v5, v[0:1], off
	global_load_dword v6, v[19:20], off offset:720
	v_add_co_u32_e32 v0, vcc, s14, v0
	v_addc_co_u32_e32 v1, vcc, v1, v4, vcc
	global_load_dword v7, v[0:1], off
	global_load_dword v8, v[19:20], off offset:1120
	;; [unrolled: 4-line block ×3, first 2 shown]
	s_waitcnt vmcnt(7)
	v_lshrrev_b32_e32 v0, 16, v2
	s_waitcnt vmcnt(6)
	v_mul_f16_sdwa v1, v3, v2 dst_sel:DWORD dst_unused:UNUSED_PAD src0_sel:WORD_1 src1_sel:DWORD
	v_mul_f16_sdwa v10, v3, v0 dst_sel:DWORD dst_unused:UNUSED_PAD src0_sel:WORD_1 src1_sel:DWORD
	v_fma_f16 v0, v3, v0, -v1
	v_fma_f16 v2, v3, v2, v10
	v_pack_b32_f16 v0, v2, v0
	s_waitcnt vmcnt(5)
	v_lshrrev_b32_e32 v1, 16, v5
	s_waitcnt vmcnt(4)
	v_mul_f16_sdwa v11, v6, v5 dst_sel:DWORD dst_unused:UNUSED_PAD src0_sel:WORD_1 src1_sel:DWORD
	v_mul_f16_sdwa v3, v6, v1 dst_sel:DWORD dst_unused:UNUSED_PAD src0_sel:WORD_1 src1_sel:DWORD
	v_fma_f16 v1, v6, v1, -v11
	v_fma_f16 v2, v6, v5, v3
	s_waitcnt vmcnt(3)
	v_lshrrev_b32_e32 v10, 16, v7
	s_waitcnt vmcnt(2)
	v_mul_f16_sdwa v11, v8, v7 dst_sel:DWORD dst_unused:UNUSED_PAD src0_sel:WORD_1 src1_sel:DWORD
	v_mul_f16_sdwa v3, v8, v10 dst_sel:DWORD dst_unused:UNUSED_PAD src0_sel:WORD_1 src1_sel:DWORD
	v_fma_f16 v5, v8, v10, -v11
	v_pack_b32_f16 v1, v2, v1
	s_waitcnt vmcnt(1)
	v_lshrrev_b32_e32 v6, 16, v4
	s_waitcnt vmcnt(0)
	v_mul_f16_sdwa v10, v9, v4 dst_sel:DWORD dst_unused:UNUSED_PAD src0_sel:WORD_1 src1_sel:DWORD
	v_fma_f16 v2, v8, v7, v3
	v_mul_f16_sdwa v3, v9, v6 dst_sel:DWORD dst_unused:UNUSED_PAD src0_sel:WORD_1 src1_sel:DWORD
	v_fma_f16 v6, v9, v6, -v10
	ds_write2_b32 v32, v0, v1 offset0:80 offset1:180
	v_fma_f16 v1, v9, v4, v3
	v_pack_b32_f16 v0, v2, v5
	v_pack_b32_f16 v1, v1, v6
	v_add_u32_e32 v2, 0x400, v32
	ds_write2_b32 v2, v0, v1 offset0:24 offset1:124
.LBB0_3:
	s_or_b64 exec, exec, s[2:3]
	s_waitcnt lgkmcnt(0)
	s_barrier
	ds_read2_b32 v[0:1], v32 offset1:40
	ds_read2_b32 v[3:4], v32 offset0:100 offset1:140
	ds_read2_b32 v[7:8], v32 offset0:200 offset1:240
	v_add_u32_e32 v2, 0x400, v32
	s_load_dwordx2 s[2:3], s[4:5], 0x8
	ds_read2_b32 v[11:12], v2 offset0:44 offset1:84
                                        ; implicit-def: $vgpr5
                                        ; implicit-def: $vgpr9
	s_and_saveexec_b64 s[4:5], s[0:1]
	s_cbranch_execz .LBB0_5
; %bb.4:
	ds_read2_b32 v[5:6], v32 offset0:80 offset1:180
	ds_read2_b32 v[9:10], v2 offset0:24 offset1:124
.LBB0_5:
	s_or_b64 exec, exec, s[4:5]
	s_waitcnt lgkmcnt(0)
	v_pk_add_f16 v14, v0, v7 neg_lo:[0,1] neg_hi:[0,1]
	v_pk_add_f16 v11, v3, v11 neg_lo:[0,1] neg_hi:[0,1]
	v_lshrrev_b32_e32 v2, 16, v14
	v_add_f16_e32 v16, v2, v11
	v_pk_add_f16 v22, v1, v8 neg_lo:[0,1] neg_hi:[0,1]
	v_fma_f16 v18, v2, 2.0, -v16
	v_pk_add_f16 v12, v4, v12 neg_lo:[0,1] neg_hi:[0,1]
	v_lshrrev_b32_e32 v2, 16, v22
	v_sub_f16_sdwa v15, v14, v11 dst_sel:DWORD dst_unused:UNUSED_PAD src0_sel:DWORD src1_sel:WORD_1
	v_add_f16_e32 v26, v2, v12
	v_pk_add_f16 v8, v6, v10 neg_lo:[0,1] neg_hi:[0,1]
	v_pk_fma_f16 v0, v0, 2.0, v14 op_sel_hi:[1,0,1] neg_lo:[0,0,1] neg_hi:[0,0,1]
	v_pk_fma_f16 v3, v3, 2.0, v11 op_sel_hi:[1,0,1] neg_lo:[0,0,1] neg_hi:[0,0,1]
	v_fma_f16 v17, v14, 2.0, -v15
	v_fma_f16 v28, v2, 2.0, -v26
	v_pk_add_f16 v7, v5, v9 neg_lo:[0,1] neg_hi:[0,1]
	v_pk_fma_f16 v2, v6, 2.0, v8 op_sel_hi:[1,0,1] neg_lo:[0,0,1] neg_hi:[0,0,1]
	v_lshlrev_b16_e32 v6, 2, v39
	v_pk_add_f16 v10, v0, v3 neg_lo:[0,1] neg_hi:[0,1]
	v_sub_f16_sdwa v25, v22, v12 dst_sel:DWORD dst_unused:UNUSED_PAD src0_sel:DWORD src1_sel:WORD_1
	v_pk_add_f16 v23, v7, v8 op_sel:[0,1] op_sel_hi:[1,0] neg_lo:[0,1] neg_hi:[0,1]
	v_pk_add_f16 v45, v7, v8 op_sel:[0,1] op_sel_hi:[1,0]
	v_lshl_add_u32 v44, v6, 2, v42
	v_pk_fma_f16 v8, v0, 2.0, v10 op_sel_hi:[1,0,1] neg_lo:[0,0,1] neg_hi:[0,0,1]
	v_pack_b32_f16 v11, v15, v16
	v_pack_b32_f16 v9, v17, v18
	v_pk_fma_f16 v0, v1, 2.0, v22 op_sel_hi:[1,0,1] neg_lo:[0,0,1] neg_hi:[0,0,1]
	v_pk_fma_f16 v1, v4, 2.0, v12 op_sel_hi:[1,0,1] neg_lo:[0,0,1] neg_hi:[0,0,1]
	v_add_co_u32_e32 v13, vcc, 0x50, v39
	v_fma_f16 v27, v22, 2.0, -v25
	v_pk_fma_f16 v5, v5, 2.0, v7 op_sel_hi:[1,0,1] neg_lo:[0,0,1] neg_hi:[0,0,1]
	s_barrier
	ds_write_b128 v44, v[8:11]
	v_pk_add_f16 v10, v0, v1 neg_lo:[0,1] neg_hi:[0,1]
	v_pk_add_f16 v2, v5, v2 neg_lo:[0,1] neg_hi:[0,1]
	v_lshl_add_u32 v46, v39, 4, v42
	v_pk_fma_f16 v8, v0, 2.0, v10 op_sel_hi:[1,0,1] neg_lo:[0,0,1] neg_hi:[0,0,1]
	v_pack_b32_f16 v11, v25, v26
	v_pack_b32_f16 v9, v27, v28
	v_lshl_add_u32 v43, v13, 4, v42
	ds_write_b128 v46, v[8:11] offset:640
	s_and_saveexec_b64 s[4:5], s[0:1]
	s_cbranch_execz .LBB0_7
; %bb.6:
	s_mov_b32 s14, 0xffff
	v_bfi_b32 v3, s14, v23, v45
	v_pk_fma_f16 v0, v5, 2.0, v2 op_sel_hi:[1,0,1] neg_lo:[0,0,1] neg_hi:[0,0,1]
	v_pk_fma_f16 v1, v7, 2.0, v3 op_sel_hi:[1,0,1] neg_lo:[0,0,1] neg_hi:[0,0,1]
	ds_write_b128 v43, v[0:3]
.LBB0_7:
	s_or_b64 exec, exec, s[4:5]
	v_and_b32_e32 v1, 3, v39
	v_mad_u64_u32 v[11:12], s[4:5], v1, 36, s[2:3]
	s_waitcnt lgkmcnt(0)
	s_barrier
	global_load_dwordx4 v[3:6], v[11:12], off
	global_load_dwordx4 v[7:10], v[11:12], off offset:16
	global_load_dword v0, v[11:12], off offset:32
	ds_read2_b32 v[11:12], v32 offset1:40
	ds_read2_b32 v[13:14], v32 offset0:80 offset1:120
	ds_read2_b32 v[15:16], v32 offset0:160 offset1:200
	v_add_u32_e32 v25, 0x200, v32
	v_add_u32_e32 v30, 0x400, v32
	ds_read2_b32 v[17:18], v25 offset0:112 offset1:152
	ds_read2_b32 v[26:27], v30 offset0:64 offset1:104
	s_waitcnt lgkmcnt(3)
	v_lshrrev_b32_e32 v29, 16, v13
	s_waitcnt lgkmcnt(2)
	v_lshrrev_b32_e32 v47, 16, v15
	v_lshrrev_b32_e32 v28, 16, v12
	s_waitcnt lgkmcnt(1)
	v_lshrrev_b32_e32 v49, 16, v17
	s_waitcnt lgkmcnt(0)
	v_lshrrev_b32_e32 v51, 16, v26
	v_lshrrev_b32_e32 v31, 16, v14
	;; [unrolled: 1-line block ×3, first 2 shown]
	s_movk_i32 s16, 0x3b9c
	s_mov_b32 s14, 0xbb9c
	s_movk_i32 s15, 0x38b4
	s_mov_b32 s4, 0xb8b4
	v_lshrrev_b32_e32 v22, 16, v11
	s_movk_i32 s5, 0x34f2
	v_lshrrev_b32_e32 v50, 16, v18
	v_lshrrev_b32_e32 v52, 16, v27
	s_movk_i32 s17, 0x3a79
	s_waitcnt vmcnt(0)
	s_barrier
	v_mul_f16_sdwa v59, v47, v6 dst_sel:DWORD dst_unused:UNUSED_PAD src0_sel:DWORD src1_sel:WORD_1
	v_mul_f16_sdwa v63, v49, v8 dst_sel:DWORD dst_unused:UNUSED_PAD src0_sel:DWORD src1_sel:WORD_1
	;; [unrolled: 1-line block ×9, first 2 shown]
	v_fma_f16 v15, v15, v6, -v59
	v_fma_f16 v17, v17, v8, -v63
	v_mul_f16_sdwa v53, v28, v3 dst_sel:DWORD dst_unused:UNUSED_PAD src0_sel:DWORD src1_sel:WORD_1
	v_fma_f16 v13, v13, v4, -v55
	v_fma_f16 v28, v28, v3, v54
	v_fma_f16 v29, v29, v4, v56
	v_fma_f16 v26, v26, v10, -v67
	v_fma_f16 v51, v51, v10, v68
	v_add_f16_e32 v54, v15, v17
	v_mul_f16_sdwa v57, v31, v5 dst_sel:DWORD dst_unused:UNUSED_PAD src0_sel:DWORD src1_sel:WORD_1
	v_mul_f16_sdwa v58, v14, v5 dst_sel:DWORD dst_unused:UNUSED_PAD src0_sel:DWORD src1_sel:WORD_1
	v_mul_f16_sdwa v61, v48, v7 dst_sel:DWORD dst_unused:UNUSED_PAD src0_sel:DWORD src1_sel:WORD_1
	v_fma_f16 v47, v47, v6, v60
	v_fma_f16 v49, v49, v8, v64
	v_sub_f16_e32 v55, v29, v51
	v_add_f16_e32 v59, v13, v26
	v_fma_f16 v54, v54, -0.5, v11
	v_mul_f16_sdwa v62, v16, v7 dst_sel:DWORD dst_unused:UNUSED_PAD src0_sel:DWORD src1_sel:WORD_1
	v_fma_f16 v14, v14, v5, -v57
	v_fma_f16 v16, v16, v7, -v61
	v_fma_f16 v31, v31, v5, v58
	v_fma_f16 v12, v12, v3, -v53
	v_add_f16_e32 v53, v11, v13
	v_sub_f16_e32 v56, v47, v49
	v_sub_f16_e32 v57, v13, v15
	;; [unrolled: 1-line block ×5, first 2 shown]
	v_fma_f16 v11, v59, -0.5, v11
	v_fma_f16 v59, v55, s16, v54
	v_fma_f16 v54, v55, s14, v54
	v_add_f16_e32 v57, v57, v58
	v_add_f16_e32 v53, v53, v15
	;; [unrolled: 1-line block ×3, first 2 shown]
	v_fma_f16 v60, v56, s14, v11
	v_fma_f16 v59, v56, s15, v59
	v_fma_f16 v54, v56, s4, v54
	v_fma_f16 v11, v56, s16, v11
	v_add_f16_e32 v56, v47, v49
	v_add_f16_e32 v53, v53, v17
	v_fma_f16 v56, v56, -0.5, v22
	v_sub_f16_e32 v13, v13, v26
	v_add_f16_e32 v53, v53, v26
	v_fma_f16 v60, v55, s15, v60
	v_fma_f16 v11, v55, s4, v11
	;; [unrolled: 1-line block ×3, first 2 shown]
	v_sub_f16_e32 v15, v15, v17
	v_fma_f16 v59, v57, s5, v59
	v_fma_f16 v54, v57, s5, v54
	;; [unrolled: 1-line block ×5, first 2 shown]
	v_sub_f16_e32 v26, v29, v47
	v_sub_f16_e32 v58, v51, v49
	v_fma_f16 v56, v13, s16, v56
	v_add_f16_e32 v26, v26, v58
	v_fma_f16 v56, v15, s15, v56
	v_fma_f16 v17, v26, s5, v17
	;; [unrolled: 1-line block ×3, first 2 shown]
	v_add_f16_e32 v56, v29, v51
	v_mul_f16_sdwa v65, v50, v9 dst_sel:DWORD dst_unused:UNUSED_PAD src0_sel:DWORD src1_sel:WORD_1
	v_add_f16_e32 v55, v22, v29
	v_fma_f16 v22, v56, -0.5, v22
	v_mul_f16_sdwa v66, v18, v9 dst_sel:DWORD dst_unused:UNUSED_PAD src0_sel:DWORD src1_sel:WORD_1
	v_mul_f16_sdwa v70, v27, v0 dst_sel:DWORD dst_unused:UNUSED_PAD src0_sel:DWORD src1_sel:WORD_1
	v_fma_f16 v18, v18, v9, -v65
	v_add_f16_e32 v55, v55, v47
	v_fma_f16 v56, v15, s16, v22
	v_sub_f16_e32 v29, v47, v29
	v_sub_f16_e32 v47, v49, v51
	v_fma_f16 v15, v15, s14, v22
	v_mul_f16_sdwa v69, v52, v0 dst_sel:DWORD dst_unused:UNUSED_PAD src0_sel:DWORD src1_sel:WORD_1
	v_fma_f16 v52, v52, v0, v70
	v_fma_f16 v56, v13, s4, v56
	v_add_f16_e32 v29, v29, v47
	v_fma_f16 v13, v13, s15, v15
	v_add_f16_e32 v22, v16, v18
	v_fma_f16 v48, v48, v7, v62
	v_fma_f16 v50, v50, v9, v66
	v_fma_f16 v27, v27, v0, -v69
	v_add_f16_e32 v55, v55, v49
	v_fma_f16 v47, v29, s5, v56
	v_fma_f16 v13, v29, s5, v13
	v_fma_f16 v22, v22, -0.5, v12
	v_sub_f16_e32 v29, v31, v52
	v_add_f16_e32 v55, v55, v51
	v_fma_f16 v49, v29, s16, v22
	v_sub_f16_e32 v51, v48, v50
	v_sub_f16_e32 v56, v14, v16
	;; [unrolled: 1-line block ×3, first 2 shown]
	v_fma_f16 v22, v29, s14, v22
	v_fma_f16 v49, v51, s15, v49
	v_add_f16_e32 v56, v56, v58
	v_fma_f16 v22, v51, s4, v22
	v_fma_f16 v49, v56, s5, v49
	;; [unrolled: 1-line block ×3, first 2 shown]
	v_add_f16_e32 v56, v14, v27
	v_add_f16_e32 v15, v12, v14
	v_fma_f16 v12, v56, -0.5, v12
	v_add_f16_e32 v15, v15, v16
	v_fma_f16 v56, v51, s14, v12
	v_fma_f16 v12, v51, s16, v12
	v_add_f16_e32 v51, v48, v50
	v_add_f16_e32 v15, v15, v18
	v_sub_f16_e32 v58, v16, v14
	v_sub_f16_e32 v60, v18, v27
	v_fma_f16 v51, v51, -0.5, v28
	v_sub_f16_e32 v14, v14, v27
	v_add_f16_e32 v15, v15, v27
	v_fma_f16 v56, v29, s15, v56
	v_add_f16_e32 v58, v58, v60
	v_fma_f16 v12, v29, s4, v12
	v_fma_f16 v27, v14, s14, v51
	v_sub_f16_e32 v16, v16, v18
	v_fma_f16 v56, v58, s5, v56
	v_fma_f16 v12, v58, s5, v12
	;; [unrolled: 1-line block ×3, first 2 shown]
	v_sub_f16_e32 v27, v31, v48
	v_sub_f16_e32 v58, v52, v50
	v_fma_f16 v51, v14, s16, v51
	v_add_f16_e32 v27, v27, v58
	v_fma_f16 v51, v16, s15, v51
	v_fma_f16 v18, v27, s5, v18
	;; [unrolled: 1-line block ×3, first 2 shown]
	v_add_f16_e32 v51, v31, v52
	v_add_f16_e32 v29, v28, v31
	v_fma_f16 v28, v51, -0.5, v28
	v_add_f16_e32 v29, v29, v48
	v_fma_f16 v51, v16, s16, v28
	v_sub_f16_e32 v31, v48, v31
	v_sub_f16_e32 v48, v50, v52
	v_fma_f16 v16, v16, s14, v28
	v_add_f16_e32 v29, v29, v50
	v_fma_f16 v51, v14, s4, v51
	v_add_f16_e32 v31, v31, v48
	v_fma_f16 v14, v14, s15, v16
	v_add_f16_e32 v29, v29, v52
	v_fma_f16 v14, v31, s5, v14
	v_mul_f16_e32 v52, 0x34f2, v12
	v_mul_f16_e32 v60, 0x3a79, v22
	v_fma_f16 v52, v14, s16, -v52
	v_fma_f16 v60, v27, s15, -v60
	v_mul_f16_e32 v14, 0x34f2, v14
	v_mul_f16_e32 v27, 0x3a79, v27
	v_fma_f16 v48, v31, s5, v51
	v_mul_f16_e32 v28, 0x38b4, v18
	v_fma_f16 v12, v12, s14, -v14
	v_fma_f16 v22, v22, s4, -v27
	v_add_f16_e32 v16, v53, v15
	v_fma_f16 v28, v49, s17, v28
	v_mul_f16_e32 v50, 0x3b9c, v48
	v_mul_f16_e32 v49, 0xb8b4, v49
	v_add_f16_e32 v27, v13, v12
	v_sub_f16_e32 v15, v53, v15
	v_add_f16_e32 v53, v26, v22
	v_sub_f16_e32 v12, v13, v12
	v_sub_f16_e32 v13, v26, v22
	v_lshrrev_b32_e32 v22, 2, v39
	v_fma_f16 v50, v56, s5, v50
	v_fma_f16 v18, v18, s17, v49
	v_mul_f16_e32 v56, 0xbb9c, v56
	v_mul_u32_u24_e32 v22, 40, v22
	v_add_f16_e32 v31, v59, v28
	v_add_f16_e32 v49, v55, v29
	v_fma_f16 v48, v48, s5, v56
	v_add_f16_e32 v56, v17, v18
	v_or_b32_e32 v1, v22, v1
	v_add_f16_e32 v51, v57, v50
	v_add_f16_e32 v58, v11, v52
	v_add_f16_e32 v14, v47, v48
	v_sub_f16_e32 v17, v17, v18
	v_sub_f16_e32 v18, v47, v48
	v_lshl_add_u32 v47, v1, 2, v42
	v_pack_b32_f16 v1, v16, v49
	v_pack_b32_f16 v16, v31, v56
	v_add_f16_e32 v61, v54, v60
	v_sub_f16_e32 v29, v55, v29
	ds_write2_b32 v47, v1, v16 offset1:4
	v_pack_b32_f16 v1, v51, v14
	v_pack_b32_f16 v14, v58, v27
	v_mad_u64_u32 v[26:27], s[2:3], v39, 36, s[2:3]
	v_sub_f16_e32 v28, v59, v28
	v_sub_f16_e32 v50, v57, v50
	ds_write2_b32 v47, v1, v14 offset0:8 offset1:12
	v_pack_b32_f16 v1, v61, v53
	v_pack_b32_f16 v14, v15, v29
	v_sub_f16_e32 v11, v11, v52
	v_sub_f16_e32 v52, v54, v60
	ds_write2_b32 v47, v1, v14 offset0:16 offset1:20
	v_pack_b32_f16 v1, v28, v17
	v_pack_b32_f16 v14, v50, v18
	ds_write2_b32 v47, v1, v14 offset0:24 offset1:28
	v_pack_b32_f16 v1, v11, v12
	v_pack_b32_f16 v11, v52, v13
	ds_write2_b32 v47, v1, v11 offset0:32 offset1:36
	s_waitcnt lgkmcnt(0)
	s_barrier
	global_load_dwordx4 v[11:14], v[26:27], off offset:144
	global_load_dwordx4 v[15:18], v[26:27], off offset:160
	global_load_dword v48, v[26:27], off offset:176
	ds_read2_b32 v[26:27], v32 offset0:80 offset1:120
	ds_read2_b32 v[28:29], v32 offset1:40
	ds_read2_b32 v[49:50], v32 offset0:160 offset1:200
	ds_read2_b32 v[51:52], v25 offset0:112 offset1:152
	;; [unrolled: 1-line block ×3, first 2 shown]
	s_waitcnt lgkmcnt(4)
	v_lshrrev_b32_e32 v1, 16, v26
	v_lshrrev_b32_e32 v22, 16, v27
	s_waitcnt lgkmcnt(2)
	v_lshrrev_b32_e32 v31, 16, v49
	v_lshrrev_b32_e32 v55, 16, v50
	;; [unrolled: 3-line block ×4, first 2 shown]
	v_lshrrev_b32_e32 v61, 16, v29
	v_lshrrev_b32_e32 v63, 16, v28
	s_add_u32 s2, s12, 0x640
	s_addc_u32 s3, s13, 0
	s_waitcnt vmcnt(2)
	v_mul_f16_sdwa v60, v1, v12 dst_sel:DWORD dst_unused:UNUSED_PAD src0_sel:DWORD src1_sel:WORD_1
	v_fma_f16 v60, v26, v12, -v60
	v_mul_f16_sdwa v26, v26, v12 dst_sel:DWORD dst_unused:UNUSED_PAD src0_sel:DWORD src1_sel:WORD_1
	v_fma_f16 v1, v1, v12, v26
	v_mul_f16_sdwa v26, v22, v13 dst_sel:DWORD dst_unused:UNUSED_PAD src0_sel:DWORD src1_sel:WORD_1
	v_fma_f16 v26, v27, v13, -v26
	v_mul_f16_sdwa v27, v27, v13 dst_sel:DWORD dst_unused:UNUSED_PAD src0_sel:DWORD src1_sel:WORD_1
	v_fma_f16 v22, v22, v13, v27
	;; [unrolled: 4-line block ×3, first 2 shown]
	s_waitcnt vmcnt(1)
	v_mul_f16_sdwa v49, v55, v15 dst_sel:DWORD dst_unused:UNUSED_PAD src0_sel:DWORD src1_sel:WORD_1
	v_fma_f16 v49, v50, v15, -v49
	v_mul_f16_sdwa v50, v50, v15 dst_sel:DWORD dst_unused:UNUSED_PAD src0_sel:DWORD src1_sel:WORD_1
	v_fma_f16 v50, v55, v15, v50
	v_mul_f16_sdwa v55, v56, v16 dst_sel:DWORD dst_unused:UNUSED_PAD src0_sel:DWORD src1_sel:WORD_1
	v_fma_f16 v55, v51, v16, -v55
	v_mul_f16_sdwa v51, v51, v16 dst_sel:DWORD dst_unused:UNUSED_PAD src0_sel:DWORD src1_sel:WORD_1
	v_fma_f16 v51, v56, v16, v51
	;; [unrolled: 4-line block ×4, first 2 shown]
	s_waitcnt vmcnt(0)
	v_mul_f16_sdwa v58, v59, v48 dst_sel:DWORD dst_unused:UNUSED_PAD src0_sel:DWORD src1_sel:WORD_1
	v_fma_f16 v58, v54, v48, -v58
	v_mul_f16_sdwa v54, v54, v48 dst_sel:DWORD dst_unused:UNUSED_PAD src0_sel:DWORD src1_sel:WORD_1
	v_fma_f16 v54, v59, v48, v54
	v_mul_f16_sdwa v59, v29, v11 dst_sel:DWORD dst_unused:UNUSED_PAD src0_sel:DWORD src1_sel:WORD_1
	v_fma_f16 v59, v61, v11, v59
	v_mul_f16_sdwa v61, v61, v11 dst_sel:DWORD dst_unused:UNUSED_PAD src0_sel:DWORD src1_sel:WORD_1
	v_fma_f16 v29, v29, v11, -v61
	v_add_f16_e32 v61, v27, v55
	v_add_f16_e32 v62, v60, v57
	v_sub_f16_e32 v64, v60, v27
	v_sub_f16_e32 v65, v57, v55
	v_fma_f16 v61, v61, -0.5, v28
	v_fma_f16 v62, v62, -0.5, v28
	v_add_f16_e32 v28, v28, v60
	v_add_f16_e32 v64, v64, v65
	v_sub_f16_e32 v65, v1, v53
	v_fma_f16 v66, v65, s16, v61
	v_sub_f16_e32 v67, v31, v51
	v_fma_f16 v61, v65, s14, v61
	v_add_f16_e32 v28, v28, v27
	v_fma_f16 v66, v67, s15, v66
	v_fma_f16 v61, v67, s4, v61
	v_add_f16_e32 v28, v28, v55
	v_fma_f16 v66, v64, s5, v66
	v_fma_f16 v61, v64, s5, v61
	v_sub_f16_e32 v64, v27, v60
	v_sub_f16_e32 v68, v55, v57
	v_add_f16_e32 v28, v28, v57
	v_sub_f16_e32 v57, v60, v57
	v_sub_f16_e32 v27, v27, v55
	;; [unrolled: 1-line block ×4, first 2 shown]
	v_add_f16_e32 v64, v64, v68
	v_fma_f16 v68, v67, s14, v62
	v_fma_f16 v62, v67, s16, v62
	v_add_f16_e32 v55, v55, v60
	v_add_f16_e32 v60, v31, v51
	v_fma_f16 v67, v65, s15, v68
	v_fma_f16 v62, v65, s4, v62
	v_fma_f16 v60, v60, -0.5, v63
	v_fma_f16 v65, v64, s5, v67
	v_fma_f16 v62, v64, s5, v62
	;; [unrolled: 1-line block ×8, first 2 shown]
	v_add_f16_e32 v60, v1, v53
	v_fma_f16 v60, v60, -0.5, v63
	v_add_f16_e32 v63, v63, v1
	v_add_f16_e32 v63, v63, v31
	v_sub_f16_e32 v1, v31, v1
	v_add_f16_e32 v31, v63, v51
	v_sub_f16_e32 v51, v51, v53
	v_add_f16_e32 v1, v1, v51
	v_fma_f16 v51, v27, s16, v60
	v_fma_f16 v27, v27, s14, v60
	;; [unrolled: 1-line block ×4, first 2 shown]
	v_add_f16_e32 v31, v31, v53
	v_fma_f16 v51, v1, s5, v51
	v_fma_f16 v27, v1, s5, v27
	v_sub_f16_e32 v1, v26, v49
	v_sub_f16_e32 v53, v58, v56
	v_add_f16_e32 v1, v1, v53
	v_add_f16_e32 v53, v49, v56
	v_fma_f16 v53, v53, -0.5, v29
	v_sub_f16_e32 v57, v22, v54
	v_fma_f16 v60, v57, s16, v53
	v_sub_f16_e32 v63, v50, v52
	v_fma_f16 v53, v57, s14, v53
	v_fma_f16 v60, v63, s15, v60
	;; [unrolled: 1-line block ×5, first 2 shown]
	v_sub_f16_e32 v1, v49, v26
	v_sub_f16_e32 v67, v56, v58
	v_add_f16_e32 v1, v1, v67
	v_add_f16_e32 v67, v26, v58
	v_fma_f16 v67, v67, -0.5, v29
	v_fma_f16 v68, v63, s14, v67
	v_fma_f16 v63, v63, s16, v67
	;; [unrolled: 1-line block ×6, first 2 shown]
	v_add_f16_e32 v1, v29, v26
	v_add_f16_e32 v1, v1, v49
	;; [unrolled: 1-line block ×4, first 2 shown]
	v_sub_f16_e32 v1, v26, v58
	v_sub_f16_e32 v26, v49, v56
	v_sub_f16_e32 v49, v22, v50
	v_sub_f16_e32 v56, v54, v52
	v_add_f16_e32 v49, v49, v56
	v_add_f16_e32 v56, v50, v52
	v_fma_f16 v56, v56, -0.5, v59
	v_fma_f16 v58, v1, s14, v56
	v_fma_f16 v56, v1, s16, v56
	;; [unrolled: 1-line block ×6, first 2 shown]
	v_add_f16_e32 v56, v22, v54
	v_fma_f16 v56, v56, -0.5, v59
	v_add_f16_e32 v59, v59, v22
	v_add_f16_e32 v59, v59, v50
	v_sub_f16_e32 v22, v50, v22
	v_add_f16_e32 v50, v59, v52
	v_sub_f16_e32 v52, v52, v54
	v_add_f16_e32 v22, v22, v52
	v_fma_f16 v52, v26, s16, v56
	v_fma_f16 v26, v26, s14, v56
	;; [unrolled: 1-line block ×6, first 2 shown]
	v_mul_f16_e32 v1, 0x34f2, v57
	v_fma_f16 v22, v52, s16, -v1
	v_add_f16_e32 v50, v50, v54
	v_sub_f16_e32 v1, v62, v22
	v_add_f16_e32 v54, v62, v22
	v_mul_f16_e32 v22, 0x3a79, v53
	v_mul_f16_e32 v59, 0x38b4, v58
	v_fma_f16 v56, v49, s15, -v22
	v_fma_f16 v59, v60, s17, v59
	v_mul_f16_e32 v60, 0xb8b4, v60
	v_sub_f16_e32 v22, v61, v56
	v_add_f16_e32 v56, v61, v56
	v_fma_f16 v58, v58, s17, v60
	v_mul_f16_e32 v60, 0x3b9c, v26
	v_mul_f16_e32 v61, 0xbb9c, v63
	v_mul_f16_e32 v52, 0x34f2, v52
	v_fma_f16 v60, v63, s5, v60
	v_fma_f16 v26, v26, s5, v61
	v_fma_f16 v52, v57, s14, -v52
	v_add_f16_e32 v57, v28, v29
	v_mul_f16_e32 v49, 0x3a79, v49
	v_add_f16_e32 v61, v66, v59
	v_add_f16_e32 v62, v31, v50
	;; [unrolled: 1-line block ×3, first 2 shown]
	v_fma_f16 v53, v53, s4, -v49
	v_sub_f16_e32 v28, v28, v29
	v_add_f16_e32 v29, v65, v60
	v_sub_f16_e32 v60, v65, v60
	v_add_f16_e32 v65, v51, v26
	;; [unrolled: 2-line block ×3, first 2 shown]
	v_sub_f16_e32 v49, v27, v52
	v_pack_b32_f16 v27, v57, v62
	v_pack_b32_f16 v52, v61, v63
	v_sub_f16_e32 v31, v31, v50
	v_sub_f16_e32 v26, v51, v26
	v_add_f16_e32 v51, v55, v53
	ds_write2_b32 v32, v27, v52 offset1:40
	v_pack_b32_f16 v27, v29, v65
	v_pack_b32_f16 v29, v54, v64
	v_sub_f16_e32 v59, v66, v59
	ds_write2_b32 v32, v27, v29 offset0:80 offset1:120
	v_pack_b32_f16 v27, v56, v51
	v_pack_b32_f16 v28, v28, v31
	v_sub_f16_e32 v50, v55, v53
	ds_write2_b32 v32, v27, v28 offset0:160 offset1:200
	v_pack_b32_f16 v27, v59, v58
	v_pack_b32_f16 v26, v60, v26
	ds_write2_b32 v25, v27, v26 offset0:112 offset1:152
	v_pack_b32_f16 v25, v1, v49
	v_pack_b32_f16 v26, v22, v50
	ds_write2_b32 v30, v25, v26 offset0:64 offset1:104
	s_waitcnt lgkmcnt(0)
	s_barrier
	global_load_dword v29, v[19:20], off offset:1600
	global_load_dword v31, v24, s[2:3] offset:400
	global_load_dword v55, v24, s[2:3] offset:800
	;; [unrolled: 1-line block ×7, first 2 shown]
	ds_read2_b32 v[25:26], v32 offset1:40
	ds_read2_b32 v[27:28], v32 offset0:100 offset1:140
	s_waitcnt lgkmcnt(1)
	v_lshrrev_b32_e32 v51, 16, v25
	s_waitcnt vmcnt(7)
	v_mul_f16_sdwa v52, v51, v29 dst_sel:DWORD dst_unused:UNUSED_PAD src0_sel:DWORD src1_sel:WORD_1
	v_fma_f16 v52, v25, v29, -v52
	v_mul_f16_sdwa v25, v25, v29 dst_sel:DWORD dst_unused:UNUSED_PAD src0_sel:DWORD src1_sel:WORD_1
	v_fma_f16 v25, v51, v29, v25
	v_pack_b32_f16 v25, v52, v25
	s_waitcnt lgkmcnt(0)
	v_lshrrev_b32_e32 v29, 16, v27
	ds_read2_b32 v[51:52], v32 offset0:200 offset1:240
	s_waitcnt vmcnt(6)
	v_mul_f16_sdwa v53, v29, v31 dst_sel:DWORD dst_unused:UNUSED_PAD src0_sel:DWORD src1_sel:WORD_1
	v_fma_f16 v53, v27, v31, -v53
	v_mul_f16_sdwa v27, v27, v31 dst_sel:DWORD dst_unused:UNUSED_PAD src0_sel:DWORD src1_sel:WORD_1
	v_fma_f16 v27, v29, v31, v27
	v_pack_b32_f16 v27, v53, v27
	ds_read2_b32 v[53:54], v30 offset0:44 offset1:84
	s_waitcnt lgkmcnt(1)
	v_lshrrev_b32_e32 v29, 16, v51
	s_waitcnt vmcnt(5)
	v_mul_f16_sdwa v31, v29, v55 dst_sel:DWORD dst_unused:UNUSED_PAD src0_sel:DWORD src1_sel:WORD_1
	v_fma_f16 v31, v51, v55, -v31
	v_mul_f16_sdwa v51, v51, v55 dst_sel:DWORD dst_unused:UNUSED_PAD src0_sel:DWORD src1_sel:WORD_1
	v_fma_f16 v29, v29, v55, v51
	v_pack_b32_f16 v29, v31, v29
	s_waitcnt lgkmcnt(0)
	v_lshrrev_b32_e32 v31, 16, v53
	s_waitcnt vmcnt(4)
	v_mul_f16_sdwa v51, v31, v56 dst_sel:DWORD dst_unused:UNUSED_PAD src0_sel:DWORD src1_sel:WORD_1
	v_fma_f16 v51, v53, v56, -v51
	v_mul_f16_sdwa v53, v53, v56 dst_sel:DWORD dst_unused:UNUSED_PAD src0_sel:DWORD src1_sel:WORD_1
	v_fma_f16 v31, v31, v56, v53
	v_pack_b32_f16 v31, v51, v31
	v_lshrrev_b32_e32 v51, 16, v26
	s_waitcnt vmcnt(0)
	v_mul_f16_sdwa v53, v51, v60 dst_sel:DWORD dst_unused:UNUSED_PAD src0_sel:DWORD src1_sel:WORD_1
	v_fma_f16 v53, v26, v60, -v53
	v_mul_f16_sdwa v26, v26, v60 dst_sel:DWORD dst_unused:UNUSED_PAD src0_sel:DWORD src1_sel:WORD_1
	v_fma_f16 v26, v51, v60, v26
	v_pack_b32_f16 v26, v53, v26
	ds_write2_b32 v32, v25, v26 offset1:40
	v_lshrrev_b32_e32 v25, 16, v28
	v_mul_f16_sdwa v26, v25, v59 dst_sel:DWORD dst_unused:UNUSED_PAD src0_sel:DWORD src1_sel:WORD_1
	v_fma_f16 v26, v28, v59, -v26
	v_mul_f16_sdwa v28, v28, v59 dst_sel:DWORD dst_unused:UNUSED_PAD src0_sel:DWORD src1_sel:WORD_1
	v_fma_f16 v25, v25, v59, v28
	v_pack_b32_f16 v25, v26, v25
	ds_write2_b32 v32, v27, v25 offset0:100 offset1:140
	v_lshrrev_b32_e32 v25, 16, v52
	v_mul_f16_sdwa v26, v25, v58 dst_sel:DWORD dst_unused:UNUSED_PAD src0_sel:DWORD src1_sel:WORD_1
	v_mul_f16_sdwa v27, v52, v58 dst_sel:DWORD dst_unused:UNUSED_PAD src0_sel:DWORD src1_sel:WORD_1
	v_fma_f16 v26, v52, v58, -v26
	v_fma_f16 v25, v25, v58, v27
	v_pack_b32_f16 v25, v26, v25
	ds_write2_b32 v32, v29, v25 offset0:200 offset1:240
	v_lshrrev_b32_e32 v25, 16, v54
	v_mul_f16_sdwa v26, v25, v57 dst_sel:DWORD dst_unused:UNUSED_PAD src0_sel:DWORD src1_sel:WORD_1
	v_mul_f16_sdwa v27, v54, v57 dst_sel:DWORD dst_unused:UNUSED_PAD src0_sel:DWORD src1_sel:WORD_1
	v_fma_f16 v26, v54, v57, -v26
	v_fma_f16 v25, v25, v57, v27
	v_pack_b32_f16 v25, v26, v25
	ds_write2_b32 v30, v31, v25 offset0:44 offset1:84
	s_and_saveexec_b64 s[4:5], s[0:1]
	s_cbranch_execz .LBB0_9
; %bb.8:
	v_mov_b32_e32 v25, s3
	v_add_co_u32_e32 v24, vcc, s2, v24
	v_addc_co_u32_e32 v25, vcc, 0, v25, vcc
	global_load_dword v28, v[24:25], off offset:320
	global_load_dword v29, v[24:25], off offset:720
	;; [unrolled: 1-line block ×4, first 2 shown]
	ds_read2_b32 v[24:25], v32 offset0:80 offset1:180
	ds_read2_b32 v[26:27], v30 offset0:24 offset1:124
	s_waitcnt lgkmcnt(1)
	v_lshrrev_b32_e32 v52, 16, v24
	v_lshrrev_b32_e32 v53, 16, v25
	s_waitcnt lgkmcnt(0)
	v_lshrrev_b32_e32 v54, 16, v26
	v_lshrrev_b32_e32 v55, 16, v27
	s_waitcnt vmcnt(3)
	v_mul_f16_sdwa v56, v52, v28 dst_sel:DWORD dst_unused:UNUSED_PAD src0_sel:DWORD src1_sel:WORD_1
	v_mul_f16_sdwa v57, v24, v28 dst_sel:DWORD dst_unused:UNUSED_PAD src0_sel:DWORD src1_sel:WORD_1
	s_waitcnt vmcnt(2)
	v_mul_f16_sdwa v58, v53, v29 dst_sel:DWORD dst_unused:UNUSED_PAD src0_sel:DWORD src1_sel:WORD_1
	v_mul_f16_sdwa v59, v25, v29 dst_sel:DWORD dst_unused:UNUSED_PAD src0_sel:DWORD src1_sel:WORD_1
	;; [unrolled: 3-line block ×4, first 2 shown]
	v_fma_f16 v24, v24, v28, -v56
	v_fma_f16 v28, v52, v28, v57
	v_fma_f16 v25, v25, v29, -v58
	v_fma_f16 v29, v53, v29, v59
	;; [unrolled: 2-line block ×4, first 2 shown]
	v_pack_b32_f16 v24, v24, v28
	v_pack_b32_f16 v25, v25, v29
	;; [unrolled: 1-line block ×4, first 2 shown]
	ds_write2_b32 v32, v24, v25 offset0:80 offset1:180
	ds_write2_b32 v30, v26, v27 offset0:24 offset1:124
.LBB0_9:
	s_or_b64 exec, exec, s[4:5]
	s_waitcnt lgkmcnt(0)
	s_barrier
	ds_read2_b32 v[24:25], v32 offset1:40
	ds_read2_b32 v[26:27], v32 offset0:100 offset1:140
	ds_read2_b32 v[28:29], v32 offset0:200 offset1:240
	;; [unrolled: 1-line block ×3, first 2 shown]
	v_add_u32_e32 v46, 0x280, v46
	v_lshrrev_b32_e32 v45, 16, v45
	s_and_saveexec_b64 s[2:3], s[0:1]
	s_cbranch_execz .LBB0_11
; %bb.10:
	v_lshl_add_u32 v22, v39, 2, v42
	v_add_u32_e32 v1, 0x100, v32
	v_add_u32_e32 v22, 0x200, v22
	ds_read2_b32 v[1:2], v1 offset0:16 offset1:216
	ds_read2_b32 v[22:23], v22 offset0:52 offset1:252
	s_waitcnt lgkmcnt(1)
	v_lshrrev_b32_e32 v49, 16, v1
	s_waitcnt lgkmcnt(0)
	v_lshrrev_b32_e32 v50, 16, v22
	v_lshrrev_b32_e32 v45, 16, v23
.LBB0_11:
	s_or_b64 exec, exec, s[2:3]
	s_waitcnt lgkmcnt(1)
	v_pk_add_f16 v28, v24, v28 neg_lo:[0,1] neg_hi:[0,1]
	s_waitcnt lgkmcnt(0)
	v_pk_add_f16 v30, v26, v30 neg_lo:[0,1] neg_hi:[0,1]
	v_lshrrev_b32_e32 v51, 16, v28
	v_pk_add_f16 v54, v25, v29 neg_lo:[0,1] neg_hi:[0,1]
	v_pk_fma_f16 v24, v24, 2.0, v28 op_sel_hi:[1,0,1] neg_lo:[0,0,1] neg_hi:[0,0,1]
	v_pk_fma_f16 v26, v26, 2.0, v30 op_sel_hi:[1,0,1] neg_lo:[0,0,1] neg_hi:[0,0,1]
	v_add_f16_sdwa v42, v28, v30 dst_sel:DWORD dst_unused:UNUSED_PAD src0_sel:DWORD src1_sel:WORD_1
	v_sub_f16_e32 v52, v51, v30
	v_pk_add_f16 v55, v27, v31 neg_lo:[0,1] neg_hi:[0,1]
	v_lshrrev_b32_e32 v29, 16, v54
	v_pk_add_f16 v30, v24, v26 neg_lo:[0,1] neg_hi:[0,1]
	v_fma_f16 v53, v28, 2.0, -v42
	v_add_f16_sdwa v56, v54, v55 dst_sel:DWORD dst_unused:UNUSED_PAD src0_sel:DWORD src1_sel:WORD_1
	v_sub_f16_e32 v57, v29, v55
	v_pk_fma_f16 v28, v24, 2.0, v30 op_sel_hi:[1,0,1] neg_lo:[0,0,1] neg_hi:[0,0,1]
	v_pk_fma_f16 v24, v25, 2.0, v54 op_sel_hi:[1,0,1] neg_lo:[0,0,1] neg_hi:[0,0,1]
	;; [unrolled: 1-line block ×3, first 2 shown]
	v_fma_f16 v51, v51, 2.0, -v52
	v_fma_f16 v58, v54, 2.0, -v56
	;; [unrolled: 1-line block ×3, first 2 shown]
	v_pk_add_f16 v26, v24, v25 neg_lo:[0,1] neg_hi:[0,1]
	v_pack_b32_f16 v31, v42, v52
	v_pack_b32_f16 v29, v53, v51
	v_pk_fma_f16 v24, v24, 2.0, v26 op_sel_hi:[1,0,1] neg_lo:[0,0,1] neg_hi:[0,0,1]
	v_pack_b32_f16 v27, v56, v57
	v_pack_b32_f16 v25, v58, v59
	s_barrier
	ds_write_b128 v44, v[28:31]
	ds_write_b128 v46, v[24:27]
	s_and_saveexec_b64 s[2:3], s[0:1]
	s_cbranch_execz .LBB0_13
; %bb.12:
	v_sub_f16_e32 v24, v1, v2
	v_sub_f16_sdwa v2, v49, v2 dst_sel:DWORD dst_unused:UNUSED_PAD src0_sel:DWORD src1_sel:WORD_1
	v_sub_f16_e32 v23, v22, v23
	v_sub_f16_e32 v25, v50, v45
	;; [unrolled: 1-line block ×3, first 2 shown]
	v_fma_f16 v29, v2, 2.0, -v28
	v_fma_f16 v1, v1, 2.0, -v24
	;; [unrolled: 1-line block ×5, first 2 shown]
	v_add_f16_e32 v26, v25, v24
	v_sub_f16_e32 v22, v1, v22
	v_sub_f16_e32 v23, v2, v23
	v_fma_f16 v27, v24, 2.0, -v26
	v_fma_f16 v1, v1, 2.0, -v22
	;; [unrolled: 1-line block ×3, first 2 shown]
	v_pack_b32_f16 v25, v26, v28
	v_pack_b32_f16 v24, v22, v23
	;; [unrolled: 1-line block ×4, first 2 shown]
	ds_write_b128 v43, v[22:25]
.LBB0_13:
	s_or_b64 exec, exec, s[2:3]
	s_waitcnt lgkmcnt(0)
	s_barrier
	ds_read2_b32 v[1:2], v32 offset1:40
	ds_read2_b32 v[23:24], v32 offset0:80 offset1:120
	ds_read2_b32 v[25:26], v32 offset0:160 offset1:200
	v_add_u32_e32 v45, 0x200, v32
	ds_read2_b32 v[27:28], v45 offset0:112 offset1:152
	s_waitcnt lgkmcnt(3)
	v_lshrrev_b32_e32 v42, 16, v2
	v_mul_f16_sdwa v54, v3, v42 dst_sel:DWORD dst_unused:UNUSED_PAD src0_sel:WORD_1 src1_sel:DWORD
	s_waitcnt lgkmcnt(2)
	v_lshrrev_b32_e32 v43, 16, v23
	v_fma_f16 v54, v3, v2, v54
	v_mul_f16_sdwa v2, v3, v2 dst_sel:DWORD dst_unused:UNUSED_PAD src0_sel:WORD_1 src1_sel:DWORD
	v_fma_f16 v2, v3, v42, -v2
	v_mul_f16_sdwa v3, v4, v43 dst_sel:DWORD dst_unused:UNUSED_PAD src0_sel:WORD_1 src1_sel:DWORD
	v_lshrrev_b32_e32 v44, 16, v24
	v_fma_f16 v3, v4, v23, v3
	v_mul_f16_sdwa v23, v4, v23 dst_sel:DWORD dst_unused:UNUSED_PAD src0_sel:WORD_1 src1_sel:DWORD
	v_fma_f16 v4, v4, v43, -v23
	v_mul_f16_sdwa v23, v5, v44 dst_sel:DWORD dst_unused:UNUSED_PAD src0_sel:WORD_1 src1_sel:DWORD
	s_waitcnt lgkmcnt(1)
	v_lshrrev_b32_e32 v46, 16, v25
	v_fma_f16 v23, v5, v24, v23
	v_mul_f16_sdwa v24, v5, v24 dst_sel:DWORD dst_unused:UNUSED_PAD src0_sel:WORD_1 src1_sel:DWORD
	v_fma_f16 v5, v5, v44, -v24
	v_mul_f16_sdwa v24, v6, v46 dst_sel:DWORD dst_unused:UNUSED_PAD src0_sel:WORD_1 src1_sel:DWORD
	v_add_u32_e32 v22, 0x400, v32
	v_lshrrev_b32_e32 v49, 16, v26
	v_fma_f16 v24, v6, v25, v24
	v_mul_f16_sdwa v25, v6, v25 dst_sel:DWORD dst_unused:UNUSED_PAD src0_sel:WORD_1 src1_sel:DWORD
	ds_read2_b32 v[29:30], v22 offset0:64 offset1:104
	v_fma_f16 v6, v6, v46, -v25
	v_mul_f16_sdwa v25, v7, v49 dst_sel:DWORD dst_unused:UNUSED_PAD src0_sel:WORD_1 src1_sel:DWORD
	s_waitcnt lgkmcnt(1)
	v_lshrrev_b32_e32 v50, 16, v27
	v_fma_f16 v25, v7, v26, v25
	v_mul_f16_sdwa v26, v7, v26 dst_sel:DWORD dst_unused:UNUSED_PAD src0_sel:WORD_1 src1_sel:DWORD
	v_fma_f16 v7, v7, v49, -v26
	v_mul_f16_sdwa v26, v8, v50 dst_sel:DWORD dst_unused:UNUSED_PAD src0_sel:WORD_1 src1_sel:DWORD
	v_lshrrev_b32_e32 v51, 16, v28
	v_fma_f16 v26, v8, v27, v26
	v_mul_f16_sdwa v27, v8, v27 dst_sel:DWORD dst_unused:UNUSED_PAD src0_sel:WORD_1 src1_sel:DWORD
	v_fma_f16 v8, v8, v50, -v27
	v_mul_f16_sdwa v27, v9, v51 dst_sel:DWORD dst_unused:UNUSED_PAD src0_sel:WORD_1 src1_sel:DWORD
	s_waitcnt lgkmcnt(0)
	v_lshrrev_b32_e32 v52, 16, v29
	v_fma_f16 v27, v9, v28, v27
	v_mul_f16_sdwa v28, v9, v28 dst_sel:DWORD dst_unused:UNUSED_PAD src0_sel:WORD_1 src1_sel:DWORD
	v_fma_f16 v9, v9, v51, -v28
	v_mul_f16_sdwa v28, v10, v52 dst_sel:DWORD dst_unused:UNUSED_PAD src0_sel:WORD_1 src1_sel:DWORD
	v_fma_f16 v28, v10, v29, v28
	v_mul_f16_sdwa v29, v10, v29 dst_sel:DWORD dst_unused:UNUSED_PAD src0_sel:WORD_1 src1_sel:DWORD
	v_fma_f16 v10, v10, v52, -v29
	v_add_f16_e32 v42, v24, v26
	v_fma_f16 v42, v42, -0.5, v1
	v_sub_f16_e32 v43, v4, v10
	s_mov_b32 s12, 0xbb9c
	s_movk_i32 s3, 0x3b9c
	v_lshrrev_b32_e32 v53, 16, v30
	v_fma_f16 v44, v43, s12, v42
	v_sub_f16_e32 v46, v6, v8
	s_mov_b32 s5, 0xb8b4
	v_sub_f16_e32 v49, v3, v24
	v_sub_f16_e32 v50, v28, v26
	v_fma_f16 v42, v43, s3, v42
	s_movk_i32 s2, 0x38b4
	v_mul_f16_sdwa v29, v0, v53 dst_sel:DWORD dst_unused:UNUSED_PAD src0_sel:WORD_1 src1_sel:DWORD
	v_fma_f16 v44, v46, s5, v44
	v_add_f16_e32 v49, v49, v50
	s_movk_i32 s4, 0x34f2
	v_fma_f16 v42, v46, s2, v42
	v_fma_f16 v29, v0, v30, v29
	v_mul_f16_sdwa v30, v0, v30 dst_sel:DWORD dst_unused:UNUSED_PAD src0_sel:WORD_1 src1_sel:DWORD
	v_fma_f16 v44, v49, s4, v44
	v_fma_f16 v42, v49, s4, v42
	v_add_f16_e32 v49, v3, v28
	v_lshrrev_b32_e32 v31, 16, v1
	v_fma_f16 v0, v0, v53, -v30
	v_add_f16_e32 v30, v1, v3
	v_fma_f16 v1, v49, -0.5, v1
	v_add_f16_e32 v30, v30, v24
	v_fma_f16 v49, v46, s3, v1
	v_fma_f16 v1, v46, s12, v1
	v_add_f16_e32 v46, v6, v8
	v_add_f16_e32 v30, v30, v26
	v_sub_f16_e32 v50, v24, v3
	v_sub_f16_e32 v51, v26, v28
	v_fma_f16 v46, v46, -0.5, v31
	v_sub_f16_e32 v3, v3, v28
	v_add_f16_e32 v30, v30, v28
	v_fma_f16 v49, v43, s5, v49
	v_add_f16_e32 v50, v50, v51
	v_fma_f16 v1, v43, s2, v1
	v_fma_f16 v28, v3, s3, v46
	v_sub_f16_e32 v24, v24, v26
	v_fma_f16 v49, v50, s4, v49
	v_fma_f16 v1, v50, s4, v1
	;; [unrolled: 1-line block ×3, first 2 shown]
	v_sub_f16_e32 v28, v4, v6
	v_sub_f16_e32 v50, v10, v8
	v_fma_f16 v46, v3, s12, v46
	v_add_f16_e32 v28, v28, v50
	v_fma_f16 v46, v24, s5, v46
	v_add_f16_e32 v43, v31, v4
	v_fma_f16 v26, v28, s4, v26
	v_fma_f16 v28, v28, s4, v46
	v_add_f16_e32 v46, v4, v10
	v_add_f16_e32 v43, v43, v6
	v_fma_f16 v31, v46, -0.5, v31
	v_add_f16_e32 v43, v43, v8
	v_fma_f16 v46, v24, s12, v31
	v_sub_f16_e32 v4, v6, v4
	v_sub_f16_e32 v6, v8, v10
	v_fma_f16 v8, v24, s3, v31
	v_fma_f16 v46, v3, s2, v46
	v_fma_f16 v3, v3, s5, v8
	v_add_f16_e32 v8, v25, v27
	v_add_f16_e32 v43, v43, v10
	;; [unrolled: 1-line block ×3, first 2 shown]
	v_fma_f16 v8, v8, -0.5, v54
	v_sub_f16_e32 v10, v5, v0
	v_fma_f16 v6, v4, s4, v46
	v_fma_f16 v24, v10, s12, v8
	v_sub_f16_e32 v31, v7, v9
	v_sub_f16_e32 v46, v23, v25
	;; [unrolled: 1-line block ×3, first 2 shown]
	v_fma_f16 v8, v10, s3, v8
	v_fma_f16 v24, v31, s5, v24
	v_add_f16_e32 v46, v46, v50
	v_fma_f16 v8, v31, s2, v8
	v_fma_f16 v24, v46, s4, v24
	;; [unrolled: 1-line block ×3, first 2 shown]
	v_add_f16_e32 v46, v23, v29
	v_fma_f16 v3, v4, s4, v3
	v_add_f16_e32 v4, v54, v23
	v_fma_f16 v46, v46, -0.5, v54
	v_add_f16_e32 v4, v4, v25
	v_fma_f16 v50, v31, s3, v46
	v_fma_f16 v31, v31, s12, v46
	v_add_f16_e32 v46, v7, v9
	v_add_f16_e32 v4, v4, v27
	v_sub_f16_e32 v51, v25, v23
	v_sub_f16_e32 v52, v27, v29
	v_fma_f16 v46, v46, -0.5, v2
	v_sub_f16_e32 v23, v23, v29
	v_add_f16_e32 v4, v4, v29
	v_fma_f16 v50, v10, s5, v50
	v_add_f16_e32 v51, v51, v52
	v_fma_f16 v10, v10, s2, v31
	v_fma_f16 v29, v23, s3, v46
	v_sub_f16_e32 v25, v25, v27
	v_fma_f16 v50, v51, s4, v50
	v_fma_f16 v10, v51, s4, v10
	;; [unrolled: 1-line block ×3, first 2 shown]
	v_sub_f16_e32 v29, v5, v7
	v_sub_f16_e32 v51, v0, v9
	v_fma_f16 v46, v23, s12, v46
	v_add_f16_e32 v31, v2, v5
	v_add_f16_e32 v29, v29, v51
	v_fma_f16 v46, v25, s5, v46
	v_add_f16_e32 v31, v31, v7
	v_fma_f16 v27, v29, s4, v27
	v_fma_f16 v29, v29, s4, v46
	v_add_f16_e32 v46, v5, v0
	v_add_f16_e32 v31, v31, v9
	v_fma_f16 v2, v46, -0.5, v2
	v_add_f16_e32 v31, v31, v0
	v_fma_f16 v46, v25, s12, v2
	v_sub_f16_e32 v5, v7, v5
	v_sub_f16_e32 v0, v9, v0
	v_fma_f16 v2, v25, s3, v2
	v_fma_f16 v46, v23, s2, v46
	v_add_f16_e32 v0, v5, v0
	v_fma_f16 v2, v23, s5, v2
	v_fma_f16 v5, v0, s4, v46
	;; [unrolled: 1-line block ×3, first 2 shown]
	v_mul_f16_e32 v7, 0xb8b4, v27
	s_movk_i32 s13, 0x3a79
	v_mul_f16_e32 v27, 0x3a79, v27
	v_fma_f16 v7, v24, s13, v7
	v_mul_f16_e32 v23, 0xbb9c, v5
	v_mul_f16_e32 v46, 0xbb9c, v0
	s_mov_b32 s14, 0xb4f2
	v_fma_f16 v24, v24, s2, v27
	v_mul_f16_e32 v5, 0x34f2, v5
	v_mul_f16_e32 v0, 0xb4f2, v0
	v_add_f16_e32 v2, v30, v4
	v_add_f16_e32 v9, v44, v7
	v_fma_f16 v23, v50, s4, v23
	v_fma_f16 v46, v10, s14, v46
	v_mul_f16_e32 v52, 0xb8b4, v29
	s_mov_b32 s15, 0xba79
	v_add_f16_e32 v54, v43, v31
	v_add_f16_e32 v27, v26, v24
	v_fma_f16 v5, v50, s3, v5
	v_fma_f16 v0, v10, s3, v0
	v_mul_f16_e32 v29, 0xba79, v29
	v_add_f16_e32 v25, v49, v23
	v_add_f16_e32 v51, v1, v46
	v_fma_f16 v52, v8, s15, v52
	v_add_f16_e32 v50, v6, v5
	v_add_f16_e32 v10, v3, v0
	v_fma_f16 v8, v8, s2, v29
	v_sub_f16_e32 v5, v6, v5
	v_pack_b32_f16 v2, v2, v54
	v_pack_b32_f16 v6, v9, v27
	v_add_f16_e32 v53, v42, v52
	v_add_f16_e32 v29, v28, v8
	v_sub_f16_e32 v4, v30, v4
	v_sub_f16_e32 v31, v43, v31
	s_barrier
	ds_write2_b32 v47, v2, v6 offset1:4
	v_pack_b32_f16 v2, v25, v50
	v_pack_b32_f16 v6, v51, v10
	v_sub_f16_e32 v7, v44, v7
	v_sub_f16_e32 v23, v49, v23
	;; [unrolled: 1-line block ×7, first 2 shown]
	ds_write2_b32 v47, v2, v6 offset0:8 offset1:12
	v_pack_b32_f16 v2, v53, v29
	v_pack_b32_f16 v4, v4, v31
	ds_write2_b32 v47, v2, v4 offset0:16 offset1:20
	v_pack_b32_f16 v2, v7, v24
	v_pack_b32_f16 v4, v23, v5
	v_pack_b32_f16 v0, v1, v0
	v_pack_b32_f16 v1, v30, v3
	ds_write2_b32 v47, v2, v4 offset0:24 offset1:28
	ds_write2_b32 v47, v0, v1 offset0:32 offset1:36
	s_waitcnt lgkmcnt(0)
	s_barrier
	ds_read2_b32 v[0:1], v32 offset1:40
	ds_read2_b32 v[2:3], v32 offset0:80 offset1:120
	ds_read2_b32 v[4:5], v32 offset0:160 offset1:200
	;; [unrolled: 1-line block ×4, first 2 shown]
	s_waitcnt lgkmcnt(4)
	v_lshrrev_b32_e32 v23, 16, v1
	v_mul_f16_sdwa v42, v11, v23 dst_sel:DWORD dst_unused:UNUSED_PAD src0_sel:WORD_1 src1_sel:DWORD
	s_waitcnt lgkmcnt(3)
	v_lshrrev_b32_e32 v24, 16, v2
	v_fma_f16 v42, v11, v1, v42
	v_mul_f16_sdwa v1, v11, v1 dst_sel:DWORD dst_unused:UNUSED_PAD src0_sel:WORD_1 src1_sel:DWORD
	v_fma_f16 v1, v11, v23, -v1
	v_mul_f16_sdwa v11, v12, v24 dst_sel:DWORD dst_unused:UNUSED_PAD src0_sel:WORD_1 src1_sel:DWORD
	v_lshrrev_b32_e32 v25, 16, v3
	v_fma_f16 v11, v12, v2, v11
	v_mul_f16_sdwa v2, v12, v2 dst_sel:DWORD dst_unused:UNUSED_PAD src0_sel:WORD_1 src1_sel:DWORD
	v_fma_f16 v2, v12, v24, -v2
	v_mul_f16_sdwa v12, v13, v25 dst_sel:DWORD dst_unused:UNUSED_PAD src0_sel:WORD_1 src1_sel:DWORD
	s_waitcnt lgkmcnt(2)
	v_lshrrev_b32_e32 v26, 16, v4
	v_fma_f16 v12, v13, v3, v12
	v_mul_f16_sdwa v3, v13, v3 dst_sel:DWORD dst_unused:UNUSED_PAD src0_sel:WORD_1 src1_sel:DWORD
	v_fma_f16 v3, v13, v25, -v3
	v_mul_f16_sdwa v13, v14, v26 dst_sel:DWORD dst_unused:UNUSED_PAD src0_sel:WORD_1 src1_sel:DWORD
	v_lshrrev_b32_e32 v27, 16, v5
	v_fma_f16 v13, v14, v4, v13
	v_mul_f16_sdwa v4, v14, v4 dst_sel:DWORD dst_unused:UNUSED_PAD src0_sel:WORD_1 src1_sel:DWORD
	v_fma_f16 v4, v14, v26, -v4
	;; [unrolled: 11-line block ×3, first 2 shown]
	v_mul_f16_sdwa v16, v17, v29 dst_sel:DWORD dst_unused:UNUSED_PAD src0_sel:WORD_1 src1_sel:DWORD
	s_waitcnt lgkmcnt(0)
	v_lshrrev_b32_e32 v30, 16, v8
	v_fma_f16 v16, v17, v7, v16
	v_mul_f16_sdwa v7, v17, v7 dst_sel:DWORD dst_unused:UNUSED_PAD src0_sel:WORD_1 src1_sel:DWORD
	v_fma_f16 v7, v17, v29, -v7
	v_mul_f16_sdwa v17, v18, v30 dst_sel:DWORD dst_unused:UNUSED_PAD src0_sel:WORD_1 src1_sel:DWORD
	v_fma_f16 v17, v18, v8, v17
	v_mul_f16_sdwa v8, v18, v8 dst_sel:DWORD dst_unused:UNUSED_PAD src0_sel:WORD_1 src1_sel:DWORD
	v_fma_f16 v8, v18, v30, -v8
	v_add_f16_e32 v24, v13, v15
	v_fma_f16 v24, v24, -0.5, v0
	v_sub_f16_e32 v25, v2, v8
	v_fma_f16 v26, v25, s12, v24
	v_sub_f16_e32 v27, v4, v6
	v_sub_f16_e32 v28, v11, v13
	v_sub_f16_e32 v29, v17, v15
	v_fma_f16 v24, v25, s3, v24
	v_fma_f16 v26, v27, s5, v26
	v_add_f16_e32 v28, v28, v29
	v_fma_f16 v24, v27, s2, v24
	v_fma_f16 v26, v28, s4, v26
	;; [unrolled: 1-line block ×3, first 2 shown]
	v_add_f16_e32 v28, v11, v17
	v_lshrrev_b32_e32 v10, 16, v0
	v_add_f16_e32 v23, v0, v11
	v_fma_f16 v0, v28, -0.5, v0
	v_add_f16_e32 v23, v23, v13
	v_fma_f16 v28, v27, s3, v0
	v_fma_f16 v0, v27, s12, v0
	v_add_f16_e32 v27, v4, v6
	v_add_f16_e32 v23, v23, v15
	v_sub_f16_e32 v29, v13, v11
	v_sub_f16_e32 v30, v15, v17
	v_fma_f16 v27, v27, -0.5, v10
	v_sub_f16_e32 v11, v11, v17
	v_add_f16_e32 v23, v23, v17
	v_fma_f16 v28, v25, s5, v28
	v_add_f16_e32 v29, v29, v30
	v_fma_f16 v0, v25, s2, v0
	v_fma_f16 v17, v11, s3, v27
	v_sub_f16_e32 v13, v13, v15
	v_fma_f16 v28, v29, s4, v28
	v_fma_f16 v0, v29, s4, v0
	;; [unrolled: 1-line block ×3, first 2 shown]
	v_sub_f16_e32 v17, v2, v4
	v_sub_f16_e32 v29, v8, v6
	v_fma_f16 v27, v11, s12, v27
	v_lshrrev_b32_e32 v31, 16, v9
	v_add_f16_e32 v25, v10, v2
	v_add_f16_e32 v17, v17, v29
	v_fma_f16 v27, v13, s5, v27
	v_mul_f16_sdwa v18, v48, v31 dst_sel:DWORD dst_unused:UNUSED_PAD src0_sel:WORD_1 src1_sel:DWORD
	v_add_f16_e32 v25, v25, v4
	v_fma_f16 v15, v17, s4, v15
	v_fma_f16 v17, v17, s4, v27
	v_add_f16_e32 v27, v2, v8
	v_fma_f16 v18, v48, v9, v18
	v_mul_f16_sdwa v9, v48, v9 dst_sel:DWORD dst_unused:UNUSED_PAD src0_sel:WORD_1 src1_sel:DWORD
	v_add_f16_e32 v25, v25, v6
	v_fma_f16 v10, v27, -0.5, v10
	v_fma_f16 v9, v48, v31, -v9
	v_add_f16_e32 v25, v25, v8
	v_fma_f16 v27, v13, s12, v10
	v_sub_f16_e32 v2, v4, v2
	v_sub_f16_e32 v4, v6, v8
	v_add_f16_e32 v8, v14, v16
	v_fma_f16 v27, v11, s2, v27
	v_add_f16_e32 v2, v2, v4
	v_fma_f16 v6, v13, s3, v10
	v_fma_f16 v8, v8, -0.5, v42
	v_sub_f16_e32 v10, v3, v9
	v_fma_f16 v4, v2, s4, v27
	v_fma_f16 v6, v11, s5, v6
	;; [unrolled: 1-line block ×3, first 2 shown]
	v_sub_f16_e32 v13, v5, v7
	v_sub_f16_e32 v27, v12, v14
	;; [unrolled: 1-line block ×3, first 2 shown]
	v_fma_f16 v8, v10, s3, v8
	v_fma_f16 v11, v13, s5, v11
	v_add_f16_e32 v27, v27, v29
	v_fma_f16 v8, v13, s2, v8
	v_fma_f16 v11, v27, s4, v11
	;; [unrolled: 1-line block ×3, first 2 shown]
	v_add_f16_e32 v27, v12, v18
	v_fma_f16 v2, v2, s4, v6
	v_add_f16_e32 v6, v42, v12
	v_fma_f16 v27, v27, -0.5, v42
	v_add_f16_e32 v6, v6, v14
	v_fma_f16 v29, v13, s3, v27
	v_fma_f16 v13, v13, s12, v27
	v_add_f16_e32 v27, v5, v7
	v_add_f16_e32 v6, v6, v16
	v_sub_f16_e32 v30, v14, v12
	v_sub_f16_e32 v31, v16, v18
	v_fma_f16 v27, v27, -0.5, v1
	v_sub_f16_e32 v12, v12, v18
	v_add_f16_e32 v6, v6, v18
	v_fma_f16 v29, v10, s5, v29
	v_add_f16_e32 v30, v30, v31
	v_fma_f16 v10, v10, s2, v13
	v_fma_f16 v18, v12, s3, v27
	v_sub_f16_e32 v14, v14, v16
	v_fma_f16 v29, v30, s4, v29
	v_fma_f16 v10, v30, s4, v10
	;; [unrolled: 1-line block ×3, first 2 shown]
	v_sub_f16_e32 v18, v3, v5
	v_sub_f16_e32 v30, v9, v7
	v_fma_f16 v27, v12, s12, v27
	v_add_f16_e32 v18, v18, v30
	v_fma_f16 v27, v14, s5, v27
	v_fma_f16 v16, v18, s4, v16
	;; [unrolled: 1-line block ×3, first 2 shown]
	v_add_f16_e32 v27, v3, v9
	v_add_f16_e32 v13, v1, v3
	v_fma_f16 v1, v27, -0.5, v1
	v_add_f16_e32 v13, v13, v5
	v_fma_f16 v27, v14, s12, v1
	v_sub_f16_e32 v3, v5, v3
	v_sub_f16_e32 v5, v7, v9
	v_fma_f16 v1, v14, s3, v1
	v_fma_f16 v27, v12, s2, v27
	v_add_f16_e32 v3, v3, v5
	v_fma_f16 v1, v12, s5, v1
	v_add_f16_e32 v13, v13, v7
	v_fma_f16 v5, v3, s4, v27
	v_fma_f16 v1, v3, s4, v1
	v_mul_f16_e32 v7, 0xb8b4, v16
	v_mul_f16_e32 v16, 0x3a79, v16
	v_add_f16_e32 v13, v13, v9
	v_fma_f16 v7, v11, s13, v7
	v_mul_f16_e32 v12, 0xbb9c, v5
	v_mul_f16_e32 v27, 0xbb9c, v1
	v_fma_f16 v11, v11, s2, v16
	v_mul_f16_e32 v5, 0x34f2, v5
	v_mul_f16_e32 v1, 0xb4f2, v1
	v_add_f16_e32 v3, v23, v6
	v_add_f16_e32 v9, v26, v7
	v_fma_f16 v12, v29, s4, v12
	v_fma_f16 v27, v10, s14, v27
	v_mul_f16_e32 v31, 0xb8b4, v18
	v_add_f16_e32 v43, v25, v13
	v_add_f16_e32 v16, v15, v11
	v_fma_f16 v5, v29, s3, v5
	v_fma_f16 v1, v10, s3, v1
	v_mul_f16_e32 v18, 0xba79, v18
	v_add_f16_e32 v14, v28, v12
	v_add_f16_e32 v30, v0, v27
	v_fma_f16 v31, v8, s15, v31
	v_add_f16_e32 v29, v4, v5
	v_add_f16_e32 v10, v2, v1
	v_fma_f16 v8, v8, s2, v18
	v_sub_f16_e32 v4, v4, v5
	v_pack_b32_f16 v3, v3, v43
	v_pack_b32_f16 v5, v9, v16
	v_add_f16_e32 v42, v24, v31
	v_add_f16_e32 v18, v17, v8
	v_sub_f16_e32 v6, v23, v6
	v_sub_f16_e32 v13, v25, v13
	ds_write2_b32 v32, v3, v5 offset1:40
	v_pack_b32_f16 v3, v14, v29
	v_pack_b32_f16 v5, v30, v10
	v_sub_f16_e32 v7, v26, v7
	v_sub_f16_e32 v12, v28, v12
	;; [unrolled: 1-line block ×7, first 2 shown]
	ds_write2_b32 v32, v3, v5 offset0:80 offset1:120
	v_pack_b32_f16 v3, v42, v18
	v_pack_b32_f16 v5, v6, v13
	ds_write2_b32 v32, v3, v5 offset0:160 offset1:200
	v_pack_b32_f16 v3, v7, v11
	v_pack_b32_f16 v4, v12, v4
	;; [unrolled: 1-line block ×4, first 2 shown]
	ds_write2_b32 v45, v3, v4 offset0:112 offset1:152
	ds_write2_b32 v22, v0, v1 offset0:64 offset1:104
	s_waitcnt lgkmcnt(0)
	s_barrier
	ds_read2_b32 v[0:1], v32 offset1:40
	s_mov_b32 s12, 0x47ae147b
	s_mov_b32 s13, 0x3f647ae1
	v_mad_u64_u32 v[4:5], s[2:3], s10, v21, 0
	s_waitcnt lgkmcnt(0)
	v_lshrrev_b32_e32 v7, 16, v0
	v_mul_f16_sdwa v2, v41, v7 dst_sel:DWORD dst_unused:UNUSED_PAD src0_sel:WORD_1 src1_sel:DWORD
	v_fma_f16 v2, v41, v0, v2
	v_cvt_f32_f16_e32 v2, v2
	s_movk_i32 s10, 0x1ff
	v_mad_u64_u32 v[5:6], s[2:3], s11, v21, v[5:6]
	v_cvt_f64_f32_e32 v[2:3], v2
	s_movk_i32 s11, 0xffe
	v_mul_f16_sdwa v0, v41, v0 dst_sel:DWORD dst_unused:UNUSED_PAD src0_sel:WORD_1 src1_sel:DWORD
	v_fma_f16 v0, v41, v7, -v0
	v_mul_f64 v[2:3], v[2:3], s[12:13]
	v_cvt_f32_f16_e32 v0, v0
	s_movk_i32 s14, 0x40f
	s_mov_b32 s15, 0x8000
	v_lshlrev_b64 v[4:5], 2, v[4:5]
	v_and_or_b32 v2, v3, s10, v2
	v_cmp_ne_u32_e32 vcc, 0, v2
	v_cndmask_b32_e64 v2, 0, 1, vcc
	v_lshrrev_b32_e32 v6, 8, v3
	v_bfe_u32 v8, v3, 20, 11
	v_and_or_b32 v2, v6, s11, v2
	v_sub_u32_e32 v9, 0x3f1, v8
	v_or_b32_e32 v6, 0x1000, v2
	v_med3_i32 v9, v9, 0, 13
	v_lshrrev_b32_e32 v10, v9, v6
	v_lshlrev_b32_e32 v9, v9, v10
	v_cmp_ne_u32_e32 vcc, v9, v6
	v_cndmask_b32_e64 v6, 0, 1, vcc
	v_add_u32_e32 v9, 0xfffffc10, v8
	v_or_b32_e32 v6, v10, v6
	v_lshl_or_b32 v8, v9, 12, v2
	v_cmp_gt_i32_e32 vcc, 1, v9
	v_cndmask_b32_e32 v6, v8, v6, vcc
	v_and_b32_e32 v8, 7, v6
	v_cmp_lt_i32_e32 vcc, 5, v8
	v_cmp_eq_u32_e64 s[2:3], 3, v8
	v_cvt_f64_f32_e32 v[7:8], v0
	v_lshrrev_b32_e32 v6, 2, v6
	s_or_b64 vcc, s[2:3], vcc
	v_addc_co_u32_e32 v10, vcc, 0, v6, vcc
	v_mul_f64 v[7:8], v[7:8], s[12:13]
	v_mov_b32_e32 v6, 0x7c00
	v_cmp_gt_i32_e32 vcc, 31, v9
	v_cndmask_b32_e32 v0, v6, v10, vcc
	v_cmp_ne_u32_e32 vcc, 0, v2
	v_cndmask_b32_e64 v2, 0, 1, vcc
	v_lshl_or_b32 v2, v2, 9, v6
	v_cmp_eq_u32_e32 vcc, s14, v9
	v_cndmask_b32_e32 v0, v0, v2, vcc
	v_lshrrev_b32_e32 v2, 16, v3
	v_and_or_b32 v11, v2, s15, v0
	v_and_or_b32 v0, v8, s10, v7
	v_cmp_ne_u32_e32 vcc, 0, v0
	v_cndmask_b32_e64 v0, 0, 1, vcc
	v_lshrrev_b32_e32 v2, 8, v8
	v_bfe_u32 v3, v8, 20, 11
	v_and_or_b32 v0, v2, s11, v0
	v_sub_u32_e32 v7, 0x3f1, v3
	v_or_b32_e32 v2, 0x1000, v0
	v_med3_i32 v7, v7, 0, 13
	v_lshrrev_b32_e32 v9, v7, v2
	v_lshlrev_b32_e32 v7, v7, v9
	v_cmp_ne_u32_e32 vcc, v7, v2
	v_cndmask_b32_e64 v2, 0, 1, vcc
	v_add_u32_e32 v3, 0xfffffc10, v3
	v_or_b32_e32 v2, v9, v2
	v_lshl_or_b32 v7, v3, 12, v0
	v_cmp_gt_i32_e32 vcc, 1, v3
	v_cndmask_b32_e32 v2, v7, v2, vcc
	v_and_b32_e32 v7, 7, v2
	v_cmp_lt_i32_e32 vcc, 5, v7
	v_cmp_eq_u32_e64 s[2:3], 3, v7
	v_lshrrev_b32_e32 v2, 2, v2
	s_or_b64 vcc, s[2:3], vcc
	v_addc_co_u32_e32 v2, vcc, 0, v2, vcc
	v_cmp_gt_i32_e32 vcc, 31, v3
	v_cndmask_b32_e32 v2, v6, v2, vcc
	v_cmp_ne_u32_e32 vcc, 0, v0
	v_cndmask_b32_e64 v0, 0, 1, vcc
	v_lshl_or_b32 v0, v0, 9, v6
	v_cmp_eq_u32_e32 vcc, s14, v3
	v_mad_u64_u32 v[9:10], s[2:3], s8, v39, 0
	v_cndmask_b32_e32 v12, v2, v0, vcc
	ds_read2_b32 v[2:3], v32 offset0:100 offset1:140
	v_mov_b32_e32 v0, v10
	v_lshrrev_b32_e32 v13, 16, v8
	v_mad_u64_u32 v[7:8], s[2:3], s9, v39, v[0:1]
	s_waitcnt lgkmcnt(0)
	v_lshrrev_b32_e32 v0, 16, v2
	v_mul_f16_sdwa v8, v40, v0 dst_sel:DWORD dst_unused:UNUSED_PAD src0_sel:WORD_1 src1_sel:DWORD
	v_fma_f16 v8, v40, v2, v8
	v_cvt_f32_f16_e32 v8, v8
	v_mov_b32_e32 v10, v7
	v_and_or_b32 v12, v13, s15, v12
	v_and_b32_e32 v11, 0xffff, v11
	v_cvt_f64_f32_e32 v[7:8], v8
	v_lshl_or_b32 v11, v12, 16, v11
	v_mov_b32_e32 v12, s7
	v_add_co_u32_e32 v13, vcc, s6, v4
	v_mul_f64 v[7:8], v[7:8], s[12:13]
	v_addc_co_u32_e32 v12, vcc, v12, v5, vcc
	v_lshlrev_b64 v[4:5], 2, v[9:10]
	v_mul_f16_sdwa v2, v40, v2 dst_sel:DWORD dst_unused:UNUSED_PAD src0_sel:WORD_1 src1_sel:DWORD
	v_add_co_u32_e32 v9, vcc, v13, v4
	v_addc_co_u32_e32 v10, vcc, v12, v5, vcc
	v_and_or_b32 v4, v8, s10, v7
	v_cmp_ne_u32_e32 vcc, 0, v4
	v_cndmask_b32_e64 v4, 0, 1, vcc
	v_lshrrev_b32_e32 v5, 8, v8
	v_and_or_b32 v7, v5, s11, v4
	v_bfe_u32 v5, v8, 20, 11
	global_store_dword v[9:10], v11, off
	v_sub_u32_e32 v11, 0x3f1, v5
	v_or_b32_e32 v4, 0x1000, v7
	v_med3_i32 v11, v11, 0, 13
	v_lshrrev_b32_e32 v12, v11, v4
	v_lshlrev_b32_e32 v11, v11, v12
	v_cmp_ne_u32_e32 vcc, v11, v4
	v_fma_f16 v0, v40, v0, -v2
	v_cndmask_b32_e64 v4, 0, 1, vcc
	v_add_u32_e32 v13, 0xfffffc10, v5
	v_cvt_f32_f16_e32 v0, v0
	v_or_b32_e32 v4, v12, v4
	v_lshl_or_b32 v5, v13, 12, v7
	v_cmp_gt_i32_e32 vcc, 1, v13
	v_cndmask_b32_e32 v4, v5, v4, vcc
	v_and_b32_e32 v5, 7, v4
	v_cmp_lt_i32_e32 vcc, 5, v5
	v_cmp_eq_u32_e64 s[2:3], 3, v5
	v_lshrrev_b32_e32 v2, 2, v4
	v_cvt_f64_f32_e32 v[4:5], v0
	s_or_b64 vcc, s[2:3], vcc
	v_addc_co_u32_e32 v0, vcc, 0, v2, vcc
	v_mul_f64 v[11:12], v[4:5], s[12:13]
	v_cmp_gt_i32_e32 vcc, 31, v13
	v_cndmask_b32_e32 v0, v6, v0, vcc
	v_cmp_ne_u32_e32 vcc, 0, v7
	v_cndmask_b32_e64 v2, 0, 1, vcc
	v_lshl_or_b32 v2, v2, 9, v6
	v_cmp_eq_u32_e32 vcc, s14, v13
	v_cndmask_b32_e32 v0, v0, v2, vcc
	v_lshrrev_b32_e32 v2, 16, v8
	v_and_or_b32 v0, v2, s15, v0
	v_and_or_b32 v2, v12, s10, v11
	v_cmp_ne_u32_e32 vcc, 0, v2
	v_cndmask_b32_e64 v2, 0, 1, vcc
	v_lshrrev_b32_e32 v4, 8, v12
	v_bfe_u32 v5, v12, 20, 11
	v_and_or_b32 v2, v4, s11, v2
	v_sub_u32_e32 v7, 0x3f1, v5
	v_or_b32_e32 v4, 0x1000, v2
	v_med3_i32 v7, v7, 0, 13
	v_lshrrev_b32_e32 v8, v7, v4
	v_lshlrev_b32_e32 v7, v7, v8
	v_cmp_ne_u32_e32 vcc, v7, v4
	v_cndmask_b32_e64 v4, 0, 1, vcc
	v_add_u32_e32 v7, 0xfffffc10, v5
	v_or_b32_e32 v4, v8, v4
	v_lshl_or_b32 v5, v7, 12, v2
	v_cmp_gt_i32_e32 vcc, 1, v7
	v_cndmask_b32_e32 v4, v5, v4, vcc
	v_and_b32_e32 v5, 7, v4
	v_cmp_lt_i32_e32 vcc, 5, v5
	v_cmp_eq_u32_e64 s[2:3], 3, v5
	v_lshrrev_b32_e32 v4, 2, v4
	s_or_b64 vcc, s[2:3], vcc
	v_addc_co_u32_e32 v4, vcc, 0, v4, vcc
	v_cmp_gt_i32_e32 vcc, 31, v7
	v_cndmask_b32_e32 v8, v6, v4, vcc
	ds_read2_b32 v[4:5], v32 offset0:200 offset1:240
	v_cmp_ne_u32_e32 vcc, 0, v2
	v_cndmask_b32_e64 v2, 0, 1, vcc
	v_lshl_or_b32 v2, v2, 9, v6
	v_cmp_eq_u32_e32 vcc, s14, v7
	v_cndmask_b32_e32 v2, v8, v2, vcc
	v_lshrrev_b32_e32 v7, 16, v12
	s_waitcnt lgkmcnt(0)
	v_lshrrev_b32_e32 v11, 16, v4
	v_and_or_b32 v2, v7, s15, v2
	v_mul_f16_sdwa v7, v38, v11 dst_sel:DWORD dst_unused:UNUSED_PAD src0_sel:WORD_1 src1_sel:DWORD
	v_fma_f16 v7, v38, v4, v7
	v_cvt_f32_f16_e32 v7, v7
	s_mul_i32 s2, s9, 0x64
	s_mul_hi_u32 s3, s8, 0x64
	s_add_i32 s3, s3, s2
	v_cvt_f64_f32_e32 v[7:8], v7
	s_mul_i32 s2, s8, 0x64
	v_and_b32_e32 v0, 0xffff, v0
	s_lshl_b64 s[6:7], s[2:3], 2
	v_mul_f64 v[7:8], v[7:8], s[12:13]
	v_lshl_or_b32 v0, v2, 16, v0
	v_mov_b32_e32 v2, s7
	v_add_co_u32_e32 v9, vcc, s6, v9
	v_addc_co_u32_e32 v10, vcc, v10, v2, vcc
	global_store_dword v[9:10], v0, off
	v_and_or_b32 v0, v8, s10, v7
	v_cmp_ne_u32_e32 vcc, 0, v0
	v_cndmask_b32_e64 v0, 0, 1, vcc
	v_lshrrev_b32_e32 v7, 8, v8
	v_bfe_u32 v12, v8, 20, 11
	v_and_or_b32 v0, v7, s11, v0
	v_sub_u32_e32 v13, 0x3f1, v12
	v_or_b32_e32 v7, 0x1000, v0
	v_med3_i32 v13, v13, 0, 13
	v_lshrrev_b32_e32 v14, v13, v7
	v_lshlrev_b32_e32 v13, v13, v14
	v_mul_f16_sdwa v4, v38, v4 dst_sel:DWORD dst_unused:UNUSED_PAD src0_sel:WORD_1 src1_sel:DWORD
	v_cmp_ne_u32_e32 vcc, v13, v7
	v_fma_f16 v4, v38, v11, -v4
	v_cndmask_b32_e64 v7, 0, 1, vcc
	v_add_u32_e32 v13, 0xfffffc10, v12
	v_cvt_f32_f16_e32 v4, v4
	v_or_b32_e32 v7, v14, v7
	v_lshl_or_b32 v12, v13, 12, v0
	v_cmp_gt_i32_e32 vcc, 1, v13
	v_cndmask_b32_e32 v7, v12, v7, vcc
	v_and_b32_e32 v12, 7, v7
	v_cmp_lt_i32_e32 vcc, 5, v12
	v_cmp_eq_u32_e64 s[2:3], 3, v12
	v_cvt_f64_f32_e32 v[11:12], v4
	v_lshrrev_b32_e32 v7, 2, v7
	s_or_b64 vcc, s[2:3], vcc
	v_addc_co_u32_e32 v4, vcc, 0, v7, vcc
	v_mul_f64 v[11:12], v[11:12], s[12:13]
	v_cmp_gt_i32_e32 vcc, 31, v13
	v_cndmask_b32_e32 v4, v6, v4, vcc
	v_cmp_ne_u32_e32 vcc, 0, v0
	v_cndmask_b32_e64 v0, 0, 1, vcc
	v_lshl_or_b32 v0, v0, 9, v6
	v_cmp_eq_u32_e32 vcc, s14, v13
	v_cndmask_b32_e32 v0, v4, v0, vcc
	v_lshrrev_b32_e32 v4, 16, v8
	v_and_or_b32 v0, v4, s15, v0
	v_and_or_b32 v4, v12, s10, v11
	v_cmp_ne_u32_e32 vcc, 0, v4
	v_cndmask_b32_e64 v4, 0, 1, vcc
	v_lshrrev_b32_e32 v7, 8, v12
	v_bfe_u32 v8, v12, 20, 11
	v_and_or_b32 v4, v7, s11, v4
	v_sub_u32_e32 v11, 0x3f1, v8
	v_or_b32_e32 v7, 0x1000, v4
	v_med3_i32 v11, v11, 0, 13
	v_lshrrev_b32_e32 v13, v11, v7
	v_lshlrev_b32_e32 v11, v11, v13
	v_cmp_ne_u32_e32 vcc, v11, v7
	v_cndmask_b32_e64 v7, 0, 1, vcc
	v_add_u32_e32 v11, 0xfffffc10, v8
	v_or_b32_e32 v7, v13, v7
	v_lshl_or_b32 v8, v11, 12, v4
	v_cmp_gt_i32_e32 vcc, 1, v11
	v_cndmask_b32_e32 v7, v8, v7, vcc
	v_and_b32_e32 v8, 7, v7
	v_cmp_lt_i32_e32 vcc, 5, v8
	v_cmp_eq_u32_e64 s[2:3], 3, v8
	v_lshrrev_b32_e32 v13, 2, v7
	ds_read2_b32 v[7:8], v22 offset0:44 offset1:84
	s_or_b64 vcc, s[2:3], vcc
	v_addc_co_u32_e32 v13, vcc, 0, v13, vcc
	v_cmp_gt_i32_e32 vcc, 31, v11
	s_waitcnt lgkmcnt(0)
	v_lshrrev_b32_e32 v16, 16, v7
	v_cndmask_b32_e32 v15, v6, v13, vcc
	v_mul_f16_sdwa v13, v37, v16 dst_sel:DWORD dst_unused:UNUSED_PAD src0_sel:WORD_1 src1_sel:DWORD
	v_fma_f16 v13, v37, v7, v13
	v_cvt_f32_f16_e32 v13, v13
	v_cmp_ne_u32_e32 vcc, 0, v4
	v_cndmask_b32_e64 v4, 0, 1, vcc
	v_lshl_or_b32 v4, v4, 9, v6
	v_cvt_f64_f32_e32 v[13:14], v13
	v_cmp_eq_u32_e32 vcc, s14, v11
	v_cndmask_b32_e32 v4, v15, v4, vcc
	v_lshrrev_b32_e32 v11, 16, v12
	v_and_or_b32 v4, v11, s15, v4
	v_mul_f64 v[11:12], v[13:14], s[12:13]
	v_and_b32_e32 v0, 0xffff, v0
	v_add_co_u32_e32 v9, vcc, s6, v9
	v_lshl_or_b32 v0, v4, 16, v0
	v_addc_co_u32_e32 v10, vcc, v10, v2, vcc
	global_store_dword v[9:10], v0, off
	v_and_or_b32 v0, v12, s10, v11
	v_cmp_ne_u32_e32 vcc, 0, v0
	v_cndmask_b32_e64 v0, 0, 1, vcc
	v_lshrrev_b32_e32 v4, 8, v12
	v_bfe_u32 v11, v12, 20, 11
	v_and_or_b32 v0, v4, s11, v0
	v_sub_u32_e32 v13, 0x3f1, v11
	v_or_b32_e32 v4, 0x1000, v0
	v_med3_i32 v13, v13, 0, 13
	v_lshrrev_b32_e32 v14, v13, v4
	v_lshlrev_b32_e32 v13, v13, v14
	v_mul_f16_sdwa v7, v37, v7 dst_sel:DWORD dst_unused:UNUSED_PAD src0_sel:WORD_1 src1_sel:DWORD
	v_cmp_ne_u32_e32 vcc, v13, v4
	v_fma_f16 v7, v37, v16, -v7
	v_cndmask_b32_e64 v4, 0, 1, vcc
	v_add_u32_e32 v11, 0xfffffc10, v11
	v_cvt_f32_f16_e32 v7, v7
	v_or_b32_e32 v4, v14, v4
	v_lshl_or_b32 v13, v11, 12, v0
	v_cmp_gt_i32_e32 vcc, 1, v11
	v_cndmask_b32_e32 v4, v13, v4, vcc
	v_and_b32_e32 v13, 7, v4
	v_cmp_lt_i32_e32 vcc, 5, v13
	v_cmp_eq_u32_e64 s[2:3], 3, v13
	v_cvt_f64_f32_e32 v[13:14], v7
	v_lshrrev_b32_e32 v4, 2, v4
	s_or_b64 vcc, s[2:3], vcc
	v_addc_co_u32_e32 v4, vcc, 0, v4, vcc
	v_mul_f64 v[13:14], v[13:14], s[12:13]
	v_cmp_gt_i32_e32 vcc, 31, v11
	v_cndmask_b32_e32 v4, v6, v4, vcc
	v_cmp_ne_u32_e32 vcc, 0, v0
	v_cndmask_b32_e64 v0, 0, 1, vcc
	v_lshl_or_b32 v0, v0, 9, v6
	v_cmp_eq_u32_e32 vcc, s14, v11
	v_cndmask_b32_e32 v0, v4, v0, vcc
	v_lshrrev_b32_e32 v4, 16, v12
	v_and_or_b32 v0, v4, s15, v0
	v_and_or_b32 v4, v14, s10, v13
	v_cmp_ne_u32_e32 vcc, 0, v4
	v_cndmask_b32_e64 v4, 0, 1, vcc
	v_lshrrev_b32_e32 v7, 8, v14
	v_bfe_u32 v11, v14, 20, 11
	v_and_or_b32 v4, v7, s11, v4
	v_sub_u32_e32 v12, 0x3f1, v11
	v_or_b32_e32 v7, 0x1000, v4
	v_med3_i32 v12, v12, 0, 13
	v_lshrrev_b32_e32 v13, v12, v7
	v_lshlrev_b32_e32 v12, v12, v13
	v_cmp_ne_u32_e32 vcc, v12, v7
	v_cndmask_b32_e64 v7, 0, 1, vcc
	v_or_b32_e32 v7, v13, v7
	v_add_u32_e32 v13, 0xfffffc10, v11
	v_lshl_or_b32 v11, v13, 12, v4
	v_cmp_gt_i32_e32 vcc, 1, v13
	v_cndmask_b32_e32 v7, v11, v7, vcc
	v_and_b32_e32 v11, 7, v7
	v_lshrrev_b32_e32 v15, 16, v1
	v_cmp_lt_i32_e32 vcc, 5, v11
	v_cmp_eq_u32_e64 s[2:3], 3, v11
	v_mul_f16_sdwa v11, v36, v15 dst_sel:DWORD dst_unused:UNUSED_PAD src0_sel:WORD_1 src1_sel:DWORD
	v_fma_f16 v11, v36, v1, v11
	v_cvt_f32_f16_e32 v11, v11
	v_lshrrev_b32_e32 v7, 2, v7
	s_or_b64 vcc, s[2:3], vcc
	v_addc_co_u32_e32 v7, vcc, 0, v7, vcc
	v_cvt_f64_f32_e32 v[11:12], v11
	v_cmp_gt_i32_e32 vcc, 31, v13
	v_cndmask_b32_e32 v7, v6, v7, vcc
	v_cmp_ne_u32_e32 vcc, 0, v4
	v_mul_f64 v[11:12], v[11:12], s[12:13]
	v_cndmask_b32_e64 v4, 0, 1, vcc
	v_lshl_or_b32 v4, v4, 9, v6
	v_cmp_eq_u32_e32 vcc, s14, v13
	v_cndmask_b32_e32 v4, v7, v4, vcc
	v_lshrrev_b32_e32 v7, 16, v14
	v_and_or_b32 v4, v7, s15, v4
	v_and_b32_e32 v0, 0xffff, v0
	v_add_co_u32_e32 v9, vcc, s6, v9
	v_lshl_or_b32 v0, v4, 16, v0
	v_addc_co_u32_e32 v10, vcc, v10, v2, vcc
	global_store_dword v[9:10], v0, off
	v_and_or_b32 v0, v12, s10, v11
	v_cmp_ne_u32_e32 vcc, 0, v0
	v_cndmask_b32_e64 v0, 0, 1, vcc
	v_lshrrev_b32_e32 v4, 8, v12
	v_bfe_u32 v7, v12, 20, 11
	v_and_or_b32 v4, v4, s11, v0
	v_sub_u32_e32 v11, 0x3f1, v7
	v_or_b32_e32 v0, 0x1000, v4
	v_med3_i32 v11, v11, 0, 13
	v_lshrrev_b32_e32 v13, v11, v0
	v_lshlrev_b32_e32 v11, v11, v13
	v_mul_f16_sdwa v1, v36, v1 dst_sel:DWORD dst_unused:UNUSED_PAD src0_sel:WORD_1 src1_sel:DWORD
	v_cmp_ne_u32_e32 vcc, v11, v0
	v_fma_f16 v1, v36, v15, -v1
	v_cndmask_b32_e64 v0, 0, 1, vcc
	v_add_u32_e32 v7, 0xfffffc10, v7
	v_cvt_f32_f16_e32 v1, v1
	v_or_b32_e32 v0, v13, v0
	v_lshl_or_b32 v11, v7, 12, v4
	v_cmp_gt_i32_e32 vcc, 1, v7
	v_cndmask_b32_e32 v0, v11, v0, vcc
	v_and_b32_e32 v11, 7, v0
	v_cmp_lt_i32_e32 vcc, 5, v11
	v_cmp_eq_u32_e64 s[2:3], 3, v11
	v_lshrrev_b32_e32 v11, 2, v0
	v_cvt_f64_f32_e32 v[0:1], v1
	s_or_b64 vcc, s[2:3], vcc
	v_addc_co_u32_e32 v11, vcc, 0, v11, vcc
	v_mul_f64 v[0:1], v[0:1], s[12:13]
	v_cmp_gt_i32_e32 vcc, 31, v7
	v_cndmask_b32_e32 v11, v6, v11, vcc
	v_cmp_ne_u32_e32 vcc, 0, v4
	v_cndmask_b32_e64 v4, 0, 1, vcc
	v_lshl_or_b32 v4, v4, 9, v6
	v_cmp_eq_u32_e32 vcc, s14, v7
	v_cndmask_b32_e32 v4, v11, v4, vcc
	v_and_or_b32 v0, v1, s10, v0
	v_lshrrev_b32_e32 v7, 16, v12
	v_cmp_ne_u32_e32 vcc, 0, v0
	v_and_or_b32 v4, v7, s15, v4
	v_cndmask_b32_e64 v0, 0, 1, vcc
	v_lshrrev_b32_e32 v7, 8, v1
	v_bfe_u32 v11, v1, 20, 11
	v_and_or_b32 v0, v7, s11, v0
	v_sub_u32_e32 v12, 0x3f1, v11
	v_or_b32_e32 v7, 0x1000, v0
	v_med3_i32 v12, v12, 0, 13
	v_lshrrev_b32_e32 v13, v12, v7
	v_lshlrev_b32_e32 v12, v12, v13
	v_cmp_ne_u32_e32 vcc, v12, v7
	v_cndmask_b32_e64 v7, 0, 1, vcc
	v_add_u32_e32 v11, 0xfffffc10, v11
	v_or_b32_e32 v7, v13, v7
	v_lshl_or_b32 v12, v11, 12, v0
	v_cmp_gt_i32_e32 vcc, 1, v11
	v_cndmask_b32_e32 v7, v12, v7, vcc
	v_and_b32_e32 v12, 7, v7
	v_cmp_lt_i32_e32 vcc, 5, v12
	v_cmp_eq_u32_e64 s[2:3], 3, v12
	v_lshrrev_b32_e32 v7, 2, v7
	s_or_b64 vcc, s[2:3], vcc
	v_addc_co_u32_e32 v7, vcc, 0, v7, vcc
	v_cmp_gt_i32_e32 vcc, 31, v11
	v_cndmask_b32_e32 v7, v6, v7, vcc
	v_cmp_ne_u32_e32 vcc, 0, v0
	v_cndmask_b32_e64 v0, 0, 1, vcc
	v_lshl_or_b32 v0, v0, 9, v6
	v_cmp_eq_u32_e32 vcc, s14, v11
	v_cndmask_b32_e32 v0, v7, v0, vcc
	v_lshrrev_b32_e32 v1, 16, v1
	v_lshrrev_b32_e32 v11, 16, v3
	v_and_or_b32 v7, v1, s15, v0
	v_mul_f16_sdwa v0, v35, v11 dst_sel:DWORD dst_unused:UNUSED_PAD src0_sel:WORD_1 src1_sel:DWORD
	v_fma_f16 v0, v35, v3, v0
	v_cvt_f32_f16_e32 v0, v0
	s_mul_hi_u32 s3, s8, 0xfffffefc
	s_mul_i32 s2, s9, 0xfffffefc
	s_sub_i32 s3, s3, s8
	v_cvt_f64_f32_e32 v[0:1], v0
	s_add_i32 s3, s3, s2
	s_mul_i32 s2, s8, 0xfffffefc
	v_and_b32_e32 v4, 0xffff, v4
	v_mul_f64 v[0:1], v[0:1], s[12:13]
	s_lshl_b64 s[4:5], s[2:3], 2
	v_lshl_or_b32 v4, v7, 16, v4
	v_mov_b32_e32 v7, s5
	v_add_co_u32_e32 v9, vcc, s4, v9
	v_addc_co_u32_e32 v10, vcc, v10, v7, vcc
	v_and_or_b32 v0, v1, s10, v0
	v_cmp_ne_u32_e32 vcc, 0, v0
	global_store_dword v[9:10], v4, off
	v_cndmask_b32_e64 v0, 0, 1, vcc
	v_lshrrev_b32_e32 v4, 8, v1
	v_bfe_u32 v7, v1, 20, 11
	v_and_or_b32 v0, v4, s11, v0
	v_sub_u32_e32 v12, 0x3f1, v7
	v_or_b32_e32 v4, 0x1000, v0
	v_med3_i32 v12, v12, 0, 13
	v_lshrrev_b32_e32 v13, v12, v4
	v_mul_f16_sdwa v3, v35, v3 dst_sel:DWORD dst_unused:UNUSED_PAD src0_sel:WORD_1 src1_sel:DWORD
	v_lshlrev_b32_e32 v12, v12, v13
	v_fma_f16 v3, v35, v11, -v3
	v_cmp_ne_u32_e32 vcc, v12, v4
	v_cvt_f32_f16_e32 v3, v3
	v_cndmask_b32_e64 v4, 0, 1, vcc
	v_add_u32_e32 v7, 0xfffffc10, v7
	v_or_b32_e32 v4, v13, v4
	v_lshl_or_b32 v12, v7, 12, v0
	v_cmp_gt_i32_e32 vcc, 1, v7
	v_cndmask_b32_e32 v4, v12, v4, vcc
	v_and_b32_e32 v12, 7, v4
	v_lshrrev_b32_e32 v11, 2, v4
	v_cvt_f64_f32_e32 v[3:4], v3
	v_cmp_lt_i32_e32 vcc, 5, v12
	v_cmp_eq_u32_e64 s[2:3], 3, v12
	s_or_b64 vcc, s[2:3], vcc
	v_mul_f64 v[3:4], v[3:4], s[12:13]
	v_addc_co_u32_e32 v11, vcc, 0, v11, vcc
	v_cmp_gt_i32_e32 vcc, 31, v7
	v_cndmask_b32_e32 v11, v6, v11, vcc
	v_cmp_ne_u32_e32 vcc, 0, v0
	v_cndmask_b32_e64 v0, 0, 1, vcc
	v_lshl_or_b32 v0, v0, 9, v6
	v_cmp_eq_u32_e32 vcc, s14, v7
	v_cndmask_b32_e32 v0, v11, v0, vcc
	v_lshrrev_b32_e32 v1, 16, v1
	v_and_or_b32 v7, v1, s15, v0
	v_and_or_b32 v0, v4, s10, v3
	v_cmp_ne_u32_e32 vcc, 0, v0
	v_cndmask_b32_e64 v0, 0, 1, vcc
	v_lshrrev_b32_e32 v1, 8, v4
	v_bfe_u32 v3, v4, 20, 11
	v_and_or_b32 v0, v1, s11, v0
	v_sub_u32_e32 v11, 0x3f1, v3
	v_or_b32_e32 v1, 0x1000, v0
	v_med3_i32 v11, v11, 0, 13
	v_lshrrev_b32_e32 v12, v11, v1
	v_lshlrev_b32_e32 v11, v11, v12
	v_cmp_ne_u32_e32 vcc, v11, v1
	v_cndmask_b32_e64 v1, 0, 1, vcc
	v_add_u32_e32 v3, 0xfffffc10, v3
	v_or_b32_e32 v1, v12, v1
	v_lshl_or_b32 v11, v3, 12, v0
	v_cmp_gt_i32_e32 vcc, 1, v3
	v_cndmask_b32_e32 v1, v11, v1, vcc
	v_and_b32_e32 v11, 7, v1
	v_cmp_lt_i32_e32 vcc, 5, v11
	v_cmp_eq_u32_e64 s[2:3], 3, v11
	v_lshrrev_b32_e32 v1, 2, v1
	s_or_b64 vcc, s[2:3], vcc
	v_addc_co_u32_e32 v1, vcc, 0, v1, vcc
	v_cmp_gt_i32_e32 vcc, 31, v3
	v_lshrrev_b32_e32 v12, 16, v5
	v_cndmask_b32_e32 v11, v6, v1, vcc
	v_mul_f16_sdwa v1, v34, v12 dst_sel:DWORD dst_unused:UNUSED_PAD src0_sel:WORD_1 src1_sel:DWORD
	v_fma_f16 v1, v34, v5, v1
	v_cvt_f32_f16_e32 v1, v1
	v_cmp_ne_u32_e32 vcc, 0, v0
	v_cndmask_b32_e64 v0, 0, 1, vcc
	v_lshl_or_b32 v13, v0, 9, v6
	v_cvt_f64_f32_e32 v[0:1], v1
	v_cmp_eq_u32_e32 vcc, s14, v3
	v_cndmask_b32_e32 v3, v11, v13, vcc
	v_lshrrev_b32_e32 v4, 16, v4
	v_mul_f64 v[0:1], v[0:1], s[12:13]
	v_and_or_b32 v3, v4, s15, v3
	v_and_b32_e32 v4, 0xffff, v7
	v_lshl_or_b32 v7, v3, 16, v4
	v_add_co_u32_e32 v3, vcc, s6, v9
	v_addc_co_u32_e32 v4, vcc, v10, v2, vcc
	v_and_or_b32 v0, v1, s10, v0
	v_cmp_ne_u32_e32 vcc, 0, v0
	global_store_dword v[3:4], v7, off
	v_cndmask_b32_e64 v0, 0, 1, vcc
	v_lshrrev_b32_e32 v7, 8, v1
	v_bfe_u32 v9, v1, 20, 11
	v_and_or_b32 v0, v7, s11, v0
	v_sub_u32_e32 v10, 0x3f1, v9
	v_or_b32_e32 v7, 0x1000, v0
	v_med3_i32 v10, v10, 0, 13
	v_lshrrev_b32_e32 v11, v10, v7
	v_lshlrev_b32_e32 v10, v10, v11
	v_cmp_ne_u32_e32 vcc, v10, v7
	v_mul_f16_sdwa v5, v34, v5 dst_sel:DWORD dst_unused:UNUSED_PAD src0_sel:WORD_1 src1_sel:DWORD
	v_cndmask_b32_e64 v7, 0, 1, vcc
	v_fma_f16 v5, v34, v12, -v5
	v_or_b32_e32 v7, v11, v7
	v_add_u32_e32 v11, 0xfffffc10, v9
	v_cvt_f32_f16_e32 v5, v5
	v_lshl_or_b32 v9, v11, 12, v0
	v_cmp_gt_i32_e32 vcc, 1, v11
	v_cndmask_b32_e32 v7, v9, v7, vcc
	v_and_b32_e32 v9, 7, v7
	v_cmp_lt_i32_e32 vcc, 5, v9
	v_cmp_eq_u32_e64 s[2:3], 3, v9
	v_cvt_f64_f32_e32 v[9:10], v5
	v_lshrrev_b32_e32 v7, 2, v7
	s_or_b64 vcc, s[2:3], vcc
	v_addc_co_u32_e32 v5, vcc, 0, v7, vcc
	v_mul_f64 v[9:10], v[9:10], s[12:13]
	v_cmp_gt_i32_e32 vcc, 31, v11
	v_cndmask_b32_e32 v5, v6, v5, vcc
	v_cmp_ne_u32_e32 vcc, 0, v0
	v_cndmask_b32_e64 v0, 0, 1, vcc
	v_lshl_or_b32 v0, v0, 9, v6
	v_cmp_eq_u32_e32 vcc, s14, v11
	v_cndmask_b32_e32 v0, v5, v0, vcc
	v_lshrrev_b32_e32 v1, 16, v1
	v_and_or_b32 v5, v1, s15, v0
	v_and_or_b32 v0, v10, s10, v9
	v_cmp_ne_u32_e32 vcc, 0, v0
	v_cndmask_b32_e64 v0, 0, 1, vcc
	v_lshrrev_b32_e32 v1, 8, v10
	v_bfe_u32 v7, v10, 20, 11
	v_and_or_b32 v0, v1, s11, v0
	v_sub_u32_e32 v9, 0x3f1, v7
	v_or_b32_e32 v1, 0x1000, v0
	v_med3_i32 v9, v9, 0, 13
	v_lshrrev_b32_e32 v11, v9, v1
	v_lshlrev_b32_e32 v9, v9, v11
	v_cmp_ne_u32_e32 vcc, v9, v1
	v_cndmask_b32_e64 v1, 0, 1, vcc
	v_add_u32_e32 v7, 0xfffffc10, v7
	v_or_b32_e32 v1, v11, v1
	v_lshl_or_b32 v9, v7, 12, v0
	v_cmp_gt_i32_e32 vcc, 1, v7
	v_cndmask_b32_e32 v1, v9, v1, vcc
	v_and_b32_e32 v9, 7, v1
	v_cmp_lt_i32_e32 vcc, 5, v9
	v_cmp_eq_u32_e64 s[2:3], 3, v9
	v_lshrrev_b32_e32 v1, 2, v1
	s_or_b64 vcc, s[2:3], vcc
	v_addc_co_u32_e32 v1, vcc, 0, v1, vcc
	v_cmp_gt_i32_e32 vcc, 31, v7
	v_lshrrev_b32_e32 v11, 16, v8
	v_cndmask_b32_e32 v9, v6, v1, vcc
	v_mul_f16_sdwa v1, v33, v11 dst_sel:DWORD dst_unused:UNUSED_PAD src0_sel:WORD_1 src1_sel:DWORD
	v_fma_f16 v1, v33, v8, v1
	v_cvt_f32_f16_e32 v1, v1
	v_cmp_ne_u32_e32 vcc, 0, v0
	v_cndmask_b32_e64 v0, 0, 1, vcc
	v_lshl_or_b32 v12, v0, 9, v6
	v_cvt_f64_f32_e32 v[0:1], v1
	v_cmp_eq_u32_e32 vcc, s14, v7
	v_cndmask_b32_e32 v7, v9, v12, vcc
	v_lshrrev_b32_e32 v9, 16, v10
	v_mul_f64 v[0:1], v[0:1], s[12:13]
	v_add_co_u32_e32 v3, vcc, s6, v3
	v_and_or_b32 v7, v9, s15, v7
	v_and_b32_e32 v5, 0xffff, v5
	v_addc_co_u32_e32 v4, vcc, v4, v2, vcc
	v_lshl_or_b32 v5, v7, 16, v5
	v_and_or_b32 v0, v1, s10, v0
	v_cmp_ne_u32_e32 vcc, 0, v0
	global_store_dword v[3:4], v5, off
	v_cndmask_b32_e64 v0, 0, 1, vcc
	v_lshrrev_b32_e32 v5, 8, v1
	v_bfe_u32 v7, v1, 20, 11
	v_and_or_b32 v0, v5, s11, v0
	v_sub_u32_e32 v9, 0x3f1, v7
	v_or_b32_e32 v5, 0x1000, v0
	v_med3_i32 v9, v9, 0, 13
	v_lshrrev_b32_e32 v10, v9, v5
	v_lshlrev_b32_e32 v9, v9, v10
	v_mul_f16_sdwa v8, v33, v8 dst_sel:DWORD dst_unused:UNUSED_PAD src0_sel:WORD_1 src1_sel:DWORD
	v_cmp_ne_u32_e32 vcc, v9, v5
	v_fma_f16 v8, v33, v11, -v8
	v_cndmask_b32_e64 v5, 0, 1, vcc
	v_add_u32_e32 v9, 0xfffffc10, v7
	v_cvt_f32_f16_e32 v8, v8
	v_or_b32_e32 v5, v10, v5
	v_lshl_or_b32 v7, v9, 12, v0
	v_cmp_gt_i32_e32 vcc, 1, v9
	v_cndmask_b32_e32 v5, v7, v5, vcc
	v_and_b32_e32 v7, 7, v5
	v_cmp_lt_i32_e32 vcc, 5, v7
	v_cmp_eq_u32_e64 s[2:3], 3, v7
	v_cvt_f64_f32_e32 v[7:8], v8
	v_lshrrev_b32_e32 v5, 2, v5
	s_or_b64 vcc, s[2:3], vcc
	v_addc_co_u32_e32 v5, vcc, 0, v5, vcc
	v_mul_f64 v[7:8], v[7:8], s[12:13]
	v_cmp_gt_i32_e32 vcc, 31, v9
	v_cndmask_b32_e32 v5, v6, v5, vcc
	v_cmp_ne_u32_e32 vcc, 0, v0
	v_cndmask_b32_e64 v0, 0, 1, vcc
	v_lshl_or_b32 v0, v0, 9, v6
	v_cmp_eq_u32_e32 vcc, s14, v9
	v_cndmask_b32_e32 v0, v5, v0, vcc
	v_lshrrev_b32_e32 v1, 16, v1
	v_and_or_b32 v0, v1, s15, v0
	v_and_or_b32 v1, v8, s10, v7
	v_cmp_ne_u32_e32 vcc, 0, v1
	v_cndmask_b32_e64 v1, 0, 1, vcc
	v_lshrrev_b32_e32 v5, 8, v8
	v_bfe_u32 v7, v8, 20, 11
	v_and_or_b32 v1, v5, s11, v1
	v_sub_u32_e32 v9, 0x3f1, v7
	v_or_b32_e32 v5, 0x1000, v1
	v_med3_i32 v9, v9, 0, 13
	v_lshrrev_b32_e32 v10, v9, v5
	v_lshlrev_b32_e32 v9, v9, v10
	v_cmp_ne_u32_e32 vcc, v9, v5
	v_cndmask_b32_e64 v5, 0, 1, vcc
	v_add_u32_e32 v7, 0xfffffc10, v7
	v_or_b32_e32 v5, v10, v5
	v_lshl_or_b32 v9, v7, 12, v1
	v_cmp_gt_i32_e32 vcc, 1, v7
	v_cndmask_b32_e32 v5, v9, v5, vcc
	v_and_b32_e32 v9, 7, v5
	v_cmp_lt_i32_e32 vcc, 5, v9
	v_cmp_eq_u32_e64 s[2:3], 3, v9
	v_lshrrev_b32_e32 v5, 2, v5
	s_or_b64 vcc, s[2:3], vcc
	v_addc_co_u32_e32 v5, vcc, 0, v5, vcc
	v_cmp_gt_i32_e32 vcc, 31, v7
	v_cndmask_b32_e32 v5, v6, v5, vcc
	v_cmp_ne_u32_e32 vcc, 0, v1
	v_cndmask_b32_e64 v1, 0, 1, vcc
	v_lshl_or_b32 v1, v1, 9, v6
	v_cmp_eq_u32_e32 vcc, s14, v7
	v_cndmask_b32_e32 v1, v5, v1, vcc
	v_lshrrev_b32_e32 v5, 16, v8
	v_and_or_b32 v1, v5, s15, v1
	v_and_b32_e32 v0, 0xffff, v0
	v_lshl_or_b32 v5, v1, 16, v0
	v_add_co_u32_e32 v0, vcc, s6, v3
	v_addc_co_u32_e32 v1, vcc, v4, v2, vcc
	global_store_dword v[0:1], v5, off
	s_and_b64 exec, exec, s[0:1]
	s_cbranch_execz .LBB0_15
; %bb.14:
	global_load_dword v4, v[19:20], off offset:320
	global_load_dword v11, v[19:20], off offset:720
	ds_read2_b32 v[2:3], v32 offset0:80 offset1:180
	global_load_dword v12, v[19:20], off offset:1120
	global_load_dword v13, v[19:20], off offset:1520
	v_mov_b32_e32 v15, s5
	v_add_co_u32_e32 v0, vcc, s4, v0
	s_waitcnt lgkmcnt(0)
	v_lshrrev_b32_e32 v5, 16, v2
	v_lshrrev_b32_e32 v14, 16, v3
	v_addc_co_u32_e32 v1, vcc, v1, v15, vcc
	s_waitcnt vmcnt(3)
	v_mul_f16_sdwa v7, v5, v4 dst_sel:DWORD dst_unused:UNUSED_PAD src0_sel:DWORD src1_sel:WORD_1
	v_mul_f16_sdwa v8, v2, v4 dst_sel:DWORD dst_unused:UNUSED_PAD src0_sel:DWORD src1_sel:WORD_1
	v_fma_f16 v2, v2, v4, v7
	v_cvt_f32_f16_e32 v2, v2
	s_waitcnt vmcnt(2)
	v_mul_f16_sdwa v9, v14, v11 dst_sel:DWORD dst_unused:UNUSED_PAD src0_sel:DWORD src1_sel:WORD_1
	v_fma_f16 v4, v4, v5, -v8
	v_cvt_f32_f16_e32 v7, v4
	v_fma_f16 v8, v3, v11, v9
	v_cvt_f64_f32_e32 v[4:5], v2
	v_cvt_f32_f16_e32 v2, v8
	v_cvt_f64_f32_e32 v[7:8], v7
	v_mul_f16_sdwa v3, v3, v11 dst_sel:DWORD dst_unused:UNUSED_PAD src0_sel:DWORD src1_sel:WORD_1
	v_mul_f64 v[4:5], v[4:5], s[12:13]
	v_cvt_f64_f32_e32 v[9:10], v2
	v_mul_f64 v[7:8], v[7:8], s[12:13]
	v_fma_f16 v3, v11, v14, -v3
	v_cvt_f32_f16_e32 v3, v3
	v_mul_f64 v[9:10], v[9:10], s[12:13]
	v_and_or_b32 v2, v5, s10, v4
	v_cmp_ne_u32_e32 vcc, 0, v2
	v_and_or_b32 v7, v8, s10, v7
	v_lshrrev_b32_e32 v4, 8, v5
	v_bfe_u32 v15, v5, 20, 11
	v_and_or_b32 v9, v10, s10, v9
	v_cndmask_b32_e64 v2, 0, 1, vcc
	v_cmp_ne_u32_e32 vcc, 0, v7
	v_lshrrev_b32_e32 v16, 8, v8
	v_bfe_u32 v17, v8, 20, 11
	v_bfe_u32 v19, v10, 20, 11
	v_sub_u32_e32 v20, 0x3f1, v15
	v_cndmask_b32_e64 v7, 0, 1, vcc
	v_cmp_ne_u32_e32 vcc, 0, v9
	v_and_or_b32 v2, v4, s11, v2
	v_lshrrev_b32_e32 v18, 8, v10
	v_sub_u32_e32 v21, 0x3f1, v17
	v_cndmask_b32_e64 v9, 0, 1, vcc
	v_sub_u32_e32 v23, 0x3f1, v19
	v_med3_i32 v4, v20, 0, 13
	v_and_or_b32 v7, v16, s11, v7
	v_or_b32_e32 v20, 0x1000, v2
	v_add_u32_e32 v15, 0xfffffc10, v15
	v_med3_i32 v16, v21, 0, 13
	v_and_or_b32 v9, v18, s11, v9
	v_med3_i32 v18, v23, 0, 13
	v_cmp_ne_u32_e32 vcc, 0, v2
	v_or_b32_e32 v23, 0x1000, v7
	v_lshrrev_b32_e32 v27, v4, v20
	v_add_u32_e32 v17, 0xfffffc10, v17
	v_lshl_or_b32 v21, v15, 12, v2
	v_cndmask_b32_e64 v2, 0, 1, vcc
	v_cmp_ne_u32_e32 vcc, 0, v7
	v_or_b32_e32 v25, 0x1000, v9
	v_lshrrev_b32_e32 v28, v16, v23
	v_lshlrev_b32_e32 v4, v4, v27
	v_lshl_or_b32 v24, v17, 12, v7
	v_cndmask_b32_e64 v7, 0, 1, vcc
	v_lshrrev_b32_e32 v29, v18, v25
	v_lshlrev_b32_e32 v16, v16, v28
	v_cmp_ne_u32_e32 vcc, v4, v20
	v_lshlrev_b32_e32 v18, v18, v29
	v_cndmask_b32_e64 v4, 0, 1, vcc
	v_cmp_ne_u32_e32 vcc, v16, v23
	v_cndmask_b32_e64 v16, 0, 1, vcc
	v_cmp_ne_u32_e32 vcc, v18, v25
	v_cndmask_b32_e64 v18, 0, 1, vcc
	v_or_b32_e32 v4, v27, v4
	v_cmp_gt_i32_e32 vcc, 1, v15
	v_add_u32_e32 v19, 0xfffffc10, v19
	v_or_b32_e32 v16, v28, v16
	v_cndmask_b32_e32 v4, v21, v4, vcc
	v_cmp_gt_i32_e32 vcc, 1, v17
	v_lshl_or_b32 v26, v19, 12, v9
	v_or_b32_e32 v18, v29, v18
	v_cndmask_b32_e32 v16, v24, v16, vcc
	v_cmp_gt_i32_e32 vcc, 1, v19
	v_and_b32_e32 v20, 7, v4
	v_cndmask_b32_e32 v18, v26, v18, vcc
	v_cmp_lt_i32_e32 vcc, 5, v20
	v_cmp_eq_u32_e64 s[0:1], 3, v20
	v_lshrrev_b32_e32 v4, 2, v4
	v_and_b32_e32 v21, 7, v16
	s_or_b64 vcc, s[0:1], vcc
	v_cmp_lt_i32_e64 s[2:3], 5, v21
	v_cmp_eq_u32_e64 s[4:5], 3, v21
	v_addc_co_u32_e32 v4, vcc, 0, v4, vcc
	v_lshrrev_b32_e32 v16, 2, v16
	s_or_b64 vcc, s[4:5], s[2:3]
	v_addc_co_u32_e32 v16, vcc, 0, v16, vcc
	v_cmp_gt_i32_e32 vcc, 31, v15
	v_cndmask_b32_e32 v4, v6, v4, vcc
	v_cmp_gt_i32_e32 vcc, 31, v17
	v_lshl_or_b32 v2, v2, 9, v6
	v_cndmask_b32_e32 v16, v6, v16, vcc
	v_cmp_eq_u32_e32 vcc, s14, v15
	v_lshrrev_b32_e32 v5, 16, v5
	v_lshl_or_b32 v7, v7, 9, v6
	v_cndmask_b32_e32 v2, v4, v2, vcc
	v_cmp_eq_u32_e32 vcc, s14, v17
	v_lshrrev_b32_e32 v8, 16, v8
	v_cndmask_b32_e32 v4, v16, v7, vcc
	v_and_or_b32 v2, v5, s15, v2
	v_and_or_b32 v4, v8, s15, v4
	v_and_b32_e32 v2, 0xffff, v2
	v_lshl_or_b32 v2, v4, 16, v2
	global_store_dword v[0:1], v2, off
	v_and_b32_e32 v2, 7, v18
	v_cmp_lt_i32_e32 vcc, 5, v2
	v_cmp_eq_u32_e64 s[0:1], 3, v2
	v_cvt_f64_f32_e32 v[2:3], v3
	v_lshrrev_b32_e32 v4, 2, v18
	s_or_b64 vcc, s[0:1], vcc
	v_addc_co_u32_e32 v4, vcc, 0, v4, vcc
	v_mul_f64 v[2:3], v[2:3], s[12:13]
	v_cmp_gt_i32_e32 vcc, 31, v19
	v_cndmask_b32_e32 v4, v6, v4, vcc
	v_cmp_ne_u32_e32 vcc, 0, v9
	v_cndmask_b32_e64 v5, 0, 1, vcc
	v_lshl_or_b32 v5, v5, 9, v6
	v_cmp_eq_u32_e32 vcc, s14, v19
	v_cndmask_b32_e32 v4, v4, v5, vcc
	v_and_or_b32 v2, v3, s10, v2
	v_lshrrev_b32_e32 v5, 16, v10
	v_cmp_ne_u32_e32 vcc, 0, v2
	v_and_or_b32 v9, v5, s15, v4
	v_cndmask_b32_e64 v2, 0, 1, vcc
	v_lshrrev_b32_e32 v4, 8, v3
	v_bfe_u32 v5, v3, 20, 11
	v_and_or_b32 v2, v4, s11, v2
	v_sub_u32_e32 v7, 0x3f1, v5
	v_or_b32_e32 v4, 0x1000, v2
	v_med3_i32 v7, v7, 0, 13
	v_lshrrev_b32_e32 v8, v7, v4
	v_lshlrev_b32_e32 v7, v7, v8
	v_cmp_ne_u32_e32 vcc, v7, v4
	v_cndmask_b32_e64 v4, 0, 1, vcc
	v_add_u32_e32 v7, 0xfffffc10, v5
	v_or_b32_e32 v4, v8, v4
	v_lshl_or_b32 v5, v7, 12, v2
	v_cmp_gt_i32_e32 vcc, 1, v7
	v_cndmask_b32_e32 v4, v5, v4, vcc
	v_and_b32_e32 v5, 7, v4
	v_cmp_lt_i32_e32 vcc, 5, v5
	v_cmp_eq_u32_e64 s[0:1], 3, v5
	v_lshrrev_b32_e32 v4, 2, v4
	s_or_b64 vcc, s[0:1], vcc
	v_addc_co_u32_e32 v8, vcc, 0, v4, vcc
	ds_read2_b32 v[4:5], v22 offset0:24 offset1:124
	v_cmp_gt_i32_e32 vcc, 31, v7
	v_cndmask_b32_e32 v8, v6, v8, vcc
	v_cmp_ne_u32_e32 vcc, 0, v2
	v_cndmask_b32_e64 v2, 0, 1, vcc
	s_waitcnt lgkmcnt(0)
	v_lshrrev_b32_e32 v10, 16, v4
	s_waitcnt vmcnt(2)
	v_mul_f16_sdwa v11, v10, v12 dst_sel:DWORD dst_unused:UNUSED_PAD src0_sel:DWORD src1_sel:WORD_1
	v_fma_f16 v11, v4, v12, v11
	v_cvt_f32_f16_e32 v11, v11
	v_lshl_or_b32 v2, v2, 9, v6
	v_cmp_eq_u32_e32 vcc, s14, v7
	v_cndmask_b32_e32 v2, v8, v2, vcc
	v_cvt_f64_f32_e32 v[7:8], v11
	v_lshrrev_b32_e32 v3, 16, v3
	v_and_or_b32 v11, v3, s15, v2
	v_and_b32_e32 v9, 0xffff, v9
	v_mul_f64 v[2:3], v[7:8], s[12:13]
	v_lshl_or_b32 v7, v11, 16, v9
	v_mov_b32_e32 v9, s7
	v_add_co_u32_e32 v0, vcc, s6, v0
	v_addc_co_u32_e32 v1, vcc, v1, v9, vcc
	global_store_dword v[0:1], v7, off
	v_and_or_b32 v2, v3, s10, v2
	v_cmp_ne_u32_e32 vcc, 0, v2
	v_cndmask_b32_e64 v2, 0, 1, vcc
	v_lshrrev_b32_e32 v7, 8, v3
	v_bfe_u32 v8, v3, 20, 11
	v_and_or_b32 v2, v7, s11, v2
	v_sub_u32_e32 v11, 0x3f1, v8
	v_or_b32_e32 v7, 0x1000, v2
	v_med3_i32 v11, v11, 0, 13
	v_lshrrev_b32_e32 v14, v11, v7
	v_lshlrev_b32_e32 v11, v11, v14
	v_mul_f16_sdwa v4, v4, v12 dst_sel:DWORD dst_unused:UNUSED_PAD src0_sel:DWORD src1_sel:WORD_1
	v_cmp_ne_u32_e32 vcc, v11, v7
	v_fma_f16 v4, v12, v10, -v4
	v_cndmask_b32_e64 v7, 0, 1, vcc
	v_add_u32_e32 v11, 0xfffffc10, v8
	v_cvt_f32_f16_e32 v4, v4
	v_or_b32_e32 v7, v14, v7
	v_lshl_or_b32 v8, v11, 12, v2
	v_cmp_gt_i32_e32 vcc, 1, v11
	v_cndmask_b32_e32 v7, v8, v7, vcc
	v_and_b32_e32 v8, 7, v7
	v_cmp_lt_i32_e32 vcc, 5, v8
	v_cmp_eq_u32_e64 s[0:1], 3, v8
	v_lshrrev_b32_e32 v10, 2, v7
	v_cvt_f64_f32_e32 v[7:8], v4
	s_or_b64 vcc, s[0:1], vcc
	v_addc_co_u32_e32 v4, vcc, 0, v10, vcc
	v_mul_f64 v[7:8], v[7:8], s[12:13]
	v_cmp_gt_i32_e32 vcc, 31, v11
	v_cndmask_b32_e32 v4, v6, v4, vcc
	v_cmp_ne_u32_e32 vcc, 0, v2
	v_cndmask_b32_e64 v2, 0, 1, vcc
	v_lshl_or_b32 v2, v2, 9, v6
	v_cmp_eq_u32_e32 vcc, s14, v11
	v_cndmask_b32_e32 v2, v4, v2, vcc
	v_lshrrev_b32_e32 v3, 16, v3
	v_and_or_b32 v4, v3, s15, v2
	v_and_or_b32 v2, v8, s10, v7
	v_cmp_ne_u32_e32 vcc, 0, v2
	v_cndmask_b32_e64 v2, 0, 1, vcc
	v_lshrrev_b32_e32 v3, 8, v8
	v_bfe_u32 v7, v8, 20, 11
	v_and_or_b32 v2, v3, s11, v2
	v_sub_u32_e32 v10, 0x3f1, v7
	v_or_b32_e32 v3, 0x1000, v2
	v_med3_i32 v10, v10, 0, 13
	v_lshrrev_b32_e32 v11, v10, v3
	v_lshlrev_b32_e32 v10, v10, v11
	v_cmp_ne_u32_e32 vcc, v10, v3
	v_cndmask_b32_e64 v3, 0, 1, vcc
	v_add_u32_e32 v7, 0xfffffc10, v7
	v_or_b32_e32 v3, v11, v3
	v_lshl_or_b32 v10, v7, 12, v2
	v_cmp_gt_i32_e32 vcc, 1, v7
	v_cndmask_b32_e32 v3, v10, v3, vcc
	v_and_b32_e32 v10, 7, v3
	v_cmp_lt_i32_e32 vcc, 5, v10
	v_cmp_eq_u32_e64 s[0:1], 3, v10
	v_lshrrev_b32_e32 v3, 2, v3
	s_or_b64 vcc, s[0:1], vcc
	v_addc_co_u32_e32 v3, vcc, 0, v3, vcc
	v_cmp_gt_i32_e32 vcc, 31, v7
	v_lshrrev_b32_e32 v11, 16, v5
	v_cndmask_b32_e32 v10, v6, v3, vcc
	s_waitcnt vmcnt(2)
	v_mul_f16_sdwa v3, v11, v13 dst_sel:DWORD dst_unused:UNUSED_PAD src0_sel:DWORD src1_sel:WORD_1
	v_fma_f16 v3, v5, v13, v3
	v_cvt_f32_f16_e32 v3, v3
	v_cmp_ne_u32_e32 vcc, 0, v2
	v_cndmask_b32_e64 v2, 0, 1, vcc
	v_lshl_or_b32 v12, v2, 9, v6
	v_cvt_f64_f32_e32 v[2:3], v3
	v_cmp_eq_u32_e32 vcc, s14, v7
	v_cndmask_b32_e32 v7, v10, v12, vcc
	v_lshrrev_b32_e32 v8, 16, v8
	v_mul_f64 v[2:3], v[2:3], s[12:13]
	v_add_co_u32_e32 v0, vcc, s6, v0
	v_and_or_b32 v7, v8, s15, v7
	v_and_b32_e32 v4, 0xffff, v4
	v_addc_co_u32_e32 v1, vcc, v1, v9, vcc
	v_lshl_or_b32 v4, v7, 16, v4
	v_and_or_b32 v2, v3, s10, v2
	v_cmp_ne_u32_e32 vcc, 0, v2
	global_store_dword v[0:1], v4, off
	v_cndmask_b32_e64 v2, 0, 1, vcc
	v_lshrrev_b32_e32 v4, 8, v3
	v_bfe_u32 v7, v3, 20, 11
	v_and_or_b32 v2, v4, s11, v2
	v_sub_u32_e32 v8, 0x3f1, v7
	v_or_b32_e32 v4, 0x1000, v2
	v_med3_i32 v8, v8, 0, 13
	v_lshrrev_b32_e32 v10, v8, v4
	v_lshlrev_b32_e32 v8, v8, v10
	v_mul_f16_sdwa v5, v5, v13 dst_sel:DWORD dst_unused:UNUSED_PAD src0_sel:DWORD src1_sel:WORD_1
	v_cmp_ne_u32_e32 vcc, v8, v4
	v_fma_f16 v5, v13, v11, -v5
	v_cndmask_b32_e64 v4, 0, 1, vcc
	v_add_u32_e32 v7, 0xfffffc10, v7
	v_cvt_f32_f16_e32 v5, v5
	v_or_b32_e32 v4, v10, v4
	v_lshl_or_b32 v8, v7, 12, v2
	v_cmp_gt_i32_e32 vcc, 1, v7
	v_cndmask_b32_e32 v4, v8, v4, vcc
	v_and_b32_e32 v8, 7, v4
	v_cmp_lt_i32_e32 vcc, 5, v8
	v_cmp_eq_u32_e64 s[0:1], 3, v8
	v_lshrrev_b32_e32 v8, 2, v4
	v_cvt_f64_f32_e32 v[4:5], v5
	s_or_b64 vcc, s[0:1], vcc
	v_addc_co_u32_e32 v8, vcc, 0, v8, vcc
	v_mul_f64 v[4:5], v[4:5], s[12:13]
	v_cmp_gt_i32_e32 vcc, 31, v7
	v_cndmask_b32_e32 v8, v6, v8, vcc
	v_cmp_ne_u32_e32 vcc, 0, v2
	v_cndmask_b32_e64 v2, 0, 1, vcc
	v_lshl_or_b32 v2, v2, 9, v6
	v_cmp_eq_u32_e32 vcc, s14, v7
	v_cndmask_b32_e32 v2, v8, v2, vcc
	v_lshrrev_b32_e32 v3, 16, v3
	v_and_or_b32 v2, v3, s15, v2
	v_and_or_b32 v3, v5, s10, v4
	v_cmp_ne_u32_e32 vcc, 0, v3
	v_cndmask_b32_e64 v3, 0, 1, vcc
	v_lshrrev_b32_e32 v4, 8, v5
	v_bfe_u32 v7, v5, 20, 11
	v_and_or_b32 v3, v4, s11, v3
	v_sub_u32_e32 v8, 0x3f1, v7
	v_or_b32_e32 v4, 0x1000, v3
	v_med3_i32 v8, v8, 0, 13
	v_lshrrev_b32_e32 v10, v8, v4
	v_lshlrev_b32_e32 v8, v8, v10
	v_cmp_ne_u32_e32 vcc, v8, v4
	v_cndmask_b32_e64 v4, 0, 1, vcc
	v_add_u32_e32 v7, 0xfffffc10, v7
	v_or_b32_e32 v4, v10, v4
	v_lshl_or_b32 v8, v7, 12, v3
	v_cmp_gt_i32_e32 vcc, 1, v7
	v_cndmask_b32_e32 v4, v8, v4, vcc
	v_and_b32_e32 v8, 7, v4
	v_cmp_lt_i32_e32 vcc, 5, v8
	v_cmp_eq_u32_e64 s[0:1], 3, v8
	v_lshrrev_b32_e32 v4, 2, v4
	s_or_b64 vcc, s[0:1], vcc
	v_addc_co_u32_e32 v4, vcc, 0, v4, vcc
	v_cmp_gt_i32_e32 vcc, 31, v7
	v_cndmask_b32_e32 v4, v6, v4, vcc
	v_cmp_ne_u32_e32 vcc, 0, v3
	v_cndmask_b32_e64 v3, 0, 1, vcc
	v_lshl_or_b32 v3, v3, 9, v6
	v_cmp_eq_u32_e32 vcc, s14, v7
	v_cndmask_b32_e32 v3, v4, v3, vcc
	v_lshrrev_b32_e32 v4, 16, v5
	v_and_or_b32 v3, v4, s15, v3
	v_and_b32_e32 v2, 0xffff, v2
	v_add_co_u32_e32 v0, vcc, s6, v0
	v_lshl_or_b32 v2, v3, 16, v2
	v_addc_co_u32_e32 v1, vcc, v1, v9, vcc
	global_store_dword v[0:1], v2, off
.LBB0_15:
	s_endpgm
	.section	.rodata,"a",@progbits
	.p2align	6, 0x0
	.amdhsa_kernel bluestein_single_back_len400_dim1_half_op_CI_CI
		.amdhsa_group_segment_fixed_size 4800
		.amdhsa_private_segment_fixed_size 0
		.amdhsa_kernarg_size 104
		.amdhsa_user_sgpr_count 6
		.amdhsa_user_sgpr_private_segment_buffer 1
		.amdhsa_user_sgpr_dispatch_ptr 0
		.amdhsa_user_sgpr_queue_ptr 0
		.amdhsa_user_sgpr_kernarg_segment_ptr 1
		.amdhsa_user_sgpr_dispatch_id 0
		.amdhsa_user_sgpr_flat_scratch_init 0
		.amdhsa_user_sgpr_private_segment_size 0
		.amdhsa_uses_dynamic_stack 0
		.amdhsa_system_sgpr_private_segment_wavefront_offset 0
		.amdhsa_system_sgpr_workgroup_id_x 1
		.amdhsa_system_sgpr_workgroup_id_y 0
		.amdhsa_system_sgpr_workgroup_id_z 0
		.amdhsa_system_sgpr_workgroup_info 0
		.amdhsa_system_vgpr_workitem_id 0
		.amdhsa_next_free_vgpr 71
		.amdhsa_next_free_sgpr 18
		.amdhsa_reserve_vcc 1
		.amdhsa_reserve_flat_scratch 0
		.amdhsa_float_round_mode_32 0
		.amdhsa_float_round_mode_16_64 0
		.amdhsa_float_denorm_mode_32 3
		.amdhsa_float_denorm_mode_16_64 3
		.amdhsa_dx10_clamp 1
		.amdhsa_ieee_mode 1
		.amdhsa_fp16_overflow 0
		.amdhsa_exception_fp_ieee_invalid_op 0
		.amdhsa_exception_fp_denorm_src 0
		.amdhsa_exception_fp_ieee_div_zero 0
		.amdhsa_exception_fp_ieee_overflow 0
		.amdhsa_exception_fp_ieee_underflow 0
		.amdhsa_exception_fp_ieee_inexact 0
		.amdhsa_exception_int_div_zero 0
	.end_amdhsa_kernel
	.text
.Lfunc_end0:
	.size	bluestein_single_back_len400_dim1_half_op_CI_CI, .Lfunc_end0-bluestein_single_back_len400_dim1_half_op_CI_CI
                                        ; -- End function
	.section	.AMDGPU.csdata,"",@progbits
; Kernel info:
; codeLenInByte = 14928
; NumSgprs: 22
; NumVgprs: 71
; ScratchSize: 0
; MemoryBound: 0
; FloatMode: 240
; IeeeMode: 1
; LDSByteSize: 4800 bytes/workgroup (compile time only)
; SGPRBlocks: 2
; VGPRBlocks: 17
; NumSGPRsForWavesPerEU: 22
; NumVGPRsForWavesPerEU: 71
; Occupancy: 3
; WaveLimiterHint : 1
; COMPUTE_PGM_RSRC2:SCRATCH_EN: 0
; COMPUTE_PGM_RSRC2:USER_SGPR: 6
; COMPUTE_PGM_RSRC2:TRAP_HANDLER: 0
; COMPUTE_PGM_RSRC2:TGID_X_EN: 1
; COMPUTE_PGM_RSRC2:TGID_Y_EN: 0
; COMPUTE_PGM_RSRC2:TGID_Z_EN: 0
; COMPUTE_PGM_RSRC2:TIDIG_COMP_CNT: 0
	.type	__hip_cuid_cee9e763eed38343,@object ; @__hip_cuid_cee9e763eed38343
	.section	.bss,"aw",@nobits
	.globl	__hip_cuid_cee9e763eed38343
__hip_cuid_cee9e763eed38343:
	.byte	0                               ; 0x0
	.size	__hip_cuid_cee9e763eed38343, 1

	.ident	"AMD clang version 19.0.0git (https://github.com/RadeonOpenCompute/llvm-project roc-6.4.0 25133 c7fe45cf4b819c5991fe208aaa96edf142730f1d)"
	.section	".note.GNU-stack","",@progbits
	.addrsig
	.addrsig_sym __hip_cuid_cee9e763eed38343
	.amdgpu_metadata
---
amdhsa.kernels:
  - .args:
      - .actual_access:  read_only
        .address_space:  global
        .offset:         0
        .size:           8
        .value_kind:     global_buffer
      - .actual_access:  read_only
        .address_space:  global
        .offset:         8
        .size:           8
        .value_kind:     global_buffer
      - .actual_access:  read_only
        .address_space:  global
        .offset:         16
        .size:           8
        .value_kind:     global_buffer
      - .actual_access:  read_only
        .address_space:  global
        .offset:         24
        .size:           8
        .value_kind:     global_buffer
      - .actual_access:  read_only
        .address_space:  global
        .offset:         32
        .size:           8
        .value_kind:     global_buffer
      - .offset:         40
        .size:           8
        .value_kind:     by_value
      - .address_space:  global
        .offset:         48
        .size:           8
        .value_kind:     global_buffer
      - .address_space:  global
        .offset:         56
        .size:           8
        .value_kind:     global_buffer
      - .address_space:  global
        .offset:         64
        .size:           8
        .value_kind:     global_buffer
      - .address_space:  global
        .offset:         72
        .size:           8
        .value_kind:     global_buffer
      - .offset:         80
        .size:           4
        .value_kind:     by_value
      - .address_space:  global
        .offset:         88
        .size:           8
        .value_kind:     global_buffer
      - .address_space:  global
        .offset:         96
        .size:           8
        .value_kind:     global_buffer
    .group_segment_fixed_size: 4800
    .kernarg_segment_align: 8
    .kernarg_segment_size: 104
    .language:       OpenCL C
    .language_version:
      - 2
      - 0
    .max_flat_workgroup_size: 120
    .name:           bluestein_single_back_len400_dim1_half_op_CI_CI
    .private_segment_fixed_size: 0
    .sgpr_count:     22
    .sgpr_spill_count: 0
    .symbol:         bluestein_single_back_len400_dim1_half_op_CI_CI.kd
    .uniform_work_group_size: 1
    .uses_dynamic_stack: false
    .vgpr_count:     71
    .vgpr_spill_count: 0
    .wavefront_size: 64
amdhsa.target:   amdgcn-amd-amdhsa--gfx906
amdhsa.version:
  - 1
  - 2
...

	.end_amdgpu_metadata
